;; amdgpu-corpus repo=ROCm/rocFFT kind=compiled arch=gfx1100 opt=O3
	.text
	.amdgcn_target "amdgcn-amd-amdhsa--gfx1100"
	.amdhsa_code_object_version 6
	.protected	bluestein_single_fwd_len595_dim1_sp_op_CI_CI ; -- Begin function bluestein_single_fwd_len595_dim1_sp_op_CI_CI
	.globl	bluestein_single_fwd_len595_dim1_sp_op_CI_CI
	.p2align	8
	.type	bluestein_single_fwd_len595_dim1_sp_op_CI_CI,@function
bluestein_single_fwd_len595_dim1_sp_op_CI_CI: ; @bluestein_single_fwd_len595_dim1_sp_op_CI_CI
; %bb.0:
	s_load_b128 s[16:19], s[0:1], 0x28
	v_mul_u32_u24_e32 v1, 0xf10, v0
	s_mov_b32 s2, exec_lo
	s_delay_alu instid0(VALU_DEP_1) | instskip(NEXT) | instid1(VALU_DEP_1)
	v_lshrrev_b32_e32 v1, 16, v1
	v_mad_u64_u32 v[77:78], null, s15, 3, v[1:2]
	v_mov_b32_e32 v78, 0
                                        ; kill: def $vgpr2 killed $sgpr0 killed $exec
	s_waitcnt lgkmcnt(0)
	s_delay_alu instid0(VALU_DEP_1)
	v_cmpx_gt_u64_e64 s[16:17], v[77:78]
	s_cbranch_execz .LBB0_10
; %bb.1:
	s_clause 0x1
	s_load_b128 s[4:7], s[0:1], 0x18
	s_load_b128 s[8:11], s[0:1], 0x0
	v_mul_lo_u16 v1, v1, 17
                                        ; implicit-def: $vgpr196
	s_delay_alu instid0(VALU_DEP_1) | instskip(NEXT) | instid1(VALU_DEP_1)
	v_sub_nc_u16 v12, v0, v1
	v_and_b32_e32 v118, 0xffff, v12
	s_delay_alu instid0(VALU_DEP_1)
	v_lshlrev_b32_e32 v0, 3, v118
	v_or_b32_e32 v11, 0x220, v118
	s_waitcnt lgkmcnt(0)
	s_load_b128 s[12:15], s[4:5], 0x0
	s_clause 0xb
	global_load_b64 v[141:142], v0, s[8:9] offset:2040
	global_load_b64 v[137:138], v0, s[8:9] offset:4080
	;; [unrolled: 1-line block ×12, first 2 shown]
	v_add_co_u32 v7, s2, s8, v0
	s_delay_alu instid0(VALU_DEP_1)
	v_add_co_ci_u32_e64 v8, null, s9, 0, s2
	s_clause 0x9
	global_load_b64 v[149:150], v0, s[8:9]
	global_load_b64 v[131:132], v0, s[8:9] offset:136
	global_load_b64 v[121:122], v0, s[8:9] offset:272
	;; [unrolled: 1-line block ×9, first 2 shown]
	scratch_store_b32 off, v11, off offset:4 ; 4-byte Folded Spill
	s_waitcnt lgkmcnt(0)
	v_mad_u64_u32 v[1:2], null, s14, v77, 0
	v_mad_u64_u32 v[3:4], null, s12, v118, 0
	s_mul_i32 s2, s12, 0x2a8
	s_mul_i32 s3, s13, 0x2a8
	s_mul_hi_u32 s4, s12, 0x2a8
	s_mul_hi_u32 s14, s12, 0xfffff098
	s_add_i32 s3, s4, s3
	s_mul_i32 s5, s13, 0xfffff098
	s_delay_alu instid0(VALU_DEP_1) | instskip(SKIP_4) | instid1(VALU_DEP_4)
	v_mad_u64_u32 v[5:6], null, s15, v77, v[2:3]
	v_lshlrev_b32_e32 v9, 3, v11
	v_add_co_u32 v6, vcc_lo, 0x1000, v7
	v_add_co_ci_u32_e32 v7, vcc_lo, 0, v8, vcc_lo
	s_mul_i32 s15, s12, 0xfffff098
	v_mov_b32_e32 v2, v5
	scratch_store_b32 off, v9, off offset:464 ; 4-byte Folded Spill
	global_load_b64 v[108:109], v9, s[8:9]
	v_mad_u64_u32 v[8:9], null, s13, v118, v[4:5]
	v_lshlrev_b64 v[1:2], 3, v[1:2]
	s_sub_i32 s4, s14, s12
	s_delay_alu instid0(SALU_CYCLE_1) | instskip(SKIP_1) | instid1(VALU_DEP_2)
	s_add_i32 s4, s4, s5
	s_mul_i32 s5, s13, 0xfffff340
	v_mov_b32_e32 v4, v8
	s_delay_alu instid0(VALU_DEP_2) | instskip(SKIP_1) | instid1(VALU_DEP_3)
	v_add_co_u32 v19, vcc_lo, s18, v1
	v_mad_u64_u32 v[8:9], null, s12, v11, 0
	v_lshlrev_b64 v[3:4], 3, v[3:4]
	v_add_co_ci_u32_e32 v20, vcc_lo, s19, v2, vcc_lo
	s_sub_i32 s5, s5, s12
	s_delay_alu instid0(VALU_DEP_2) | instskip(NEXT) | instid1(VALU_DEP_2)
	v_add_co_u32 v1, vcc_lo, v19, v3
	v_add_co_ci_u32_e32 v2, vcc_lo, v20, v4, vcc_lo
	v_mov_b32_e32 v3, v9
	s_delay_alu instid0(VALU_DEP_3) | instskip(NEXT) | instid1(VALU_DEP_3)
	v_add_co_u32 v4, vcc_lo, v1, s2
	v_add_co_ci_u32_e32 v5, vcc_lo, s3, v2, vcc_lo
	global_load_b64 v[1:2], v[1:2], off
	v_mad_u64_u32 v[9:10], null, s13, v11, v[3:4]
	v_add_co_u32 v10, vcc_lo, v4, s2
	global_load_b64 v[3:4], v[4:5], off
	v_add_co_ci_u32_e32 v11, vcc_lo, s3, v5, vcc_lo
	v_add_co_u32 v13, vcc_lo, v10, s2
	v_lshlrev_b64 v[8:9], 3, v[8:9]
	s_delay_alu instid0(VALU_DEP_3) | instskip(NEXT) | instid1(VALU_DEP_3)
	v_add_co_ci_u32_e32 v14, vcc_lo, s3, v11, vcc_lo
	v_add_co_u32 v15, vcc_lo, v13, s2
	v_add_co_u32 v234, null, v118, 34
	s_delay_alu instid0(VALU_DEP_3) | instskip(NEXT) | instid1(VALU_DEP_3)
	v_add_co_ci_u32_e32 v16, vcc_lo, s3, v14, vcc_lo
	v_add_co_u32 v17, vcc_lo, v15, s2
	s_delay_alu instid0(VALU_DEP_2) | instskip(SKIP_2) | instid1(VALU_DEP_4)
	v_add_co_ci_u32_e32 v18, vcc_lo, s3, v16, vcc_lo
	v_add_co_u32 v8, vcc_lo, v19, v8
	v_add_co_ci_u32_e32 v9, vcc_lo, v20, v9, vcc_lo
	v_add_co_u32 v19, vcc_lo, v17, s2
	s_delay_alu instid0(VALU_DEP_4)
	v_add_co_ci_u32_e32 v20, vcc_lo, s3, v18, vcc_lo
	global_load_b64 v[8:9], v[8:9], off
	v_add_co_u32 v21, vcc_lo, v19, s15
	v_add_co_ci_u32_e32 v22, vcc_lo, s4, v20, vcc_lo
	s_clause 0x1
	global_load_b64 v[10:11], v[10:11], off
	global_load_b64 v[27:28], v[13:14], off
	v_add_co_u32 v23, vcc_lo, v21, s2
	v_add_co_ci_u32_e32 v24, vcc_lo, s3, v22, vcc_lo
	global_load_b64 v[15:16], v[15:16], off
	v_add_co_u32 v25, vcc_lo, v23, s2
	v_add_co_ci_u32_e32 v26, vcc_lo, s3, v24, vcc_lo
	;; [unrolled: 3-line block ×10, first 2 shown]
	global_load_b64 v[133:134], v[6:7], off offset:120
	global_load_b64 v[33:34], v[33:34], off
	global_load_b64 v[35:36], v[35:36], off
	v_add_co_u32 v43, vcc_lo, v13, s2
	v_add_co_ci_u32_e32 v44, vcc_lo, s3, v14, vcc_lo
	s_clause 0x2
	global_load_b64 v[125:126], v0, s[8:9] offset:2992
	global_load_b64 v[94:95], v0, s[8:9] offset:3128
	;; [unrolled: 1-line block ×3, first 2 shown]
	v_add_co_u32 v45, vcc_lo, v43, s2
	v_add_co_ci_u32_e32 v46, vcc_lo, s3, v44, vcc_lo
	global_load_b64 v[51:52], v[13:14], off
	global_load_b64 v[88:89], v[6:7], off offset:392
	global_load_b64 v[37:38], v[37:38], off
	v_mad_u64_u32 v[47:48], null, 0xfffff340, s12, v[45:46]
	global_load_b64 v[39:40], v[39:40], off
	global_load_b64 v[43:44], v[43:44], off
	;; [unrolled: 1-line block ×3, first 2 shown]
	v_add_nc_u32_e32 v48, s5, v48
	v_add_co_u32 v49, vcc_lo, v47, s2
	s_delay_alu instid0(VALU_DEP_2) | instskip(NEXT) | instid1(VALU_DEP_2)
	v_add_co_ci_u32_e32 v50, vcc_lo, s3, v48, vcc_lo
	v_add_co_u32 v13, vcc_lo, v49, s2
	global_load_b64 v[47:48], v[47:48], off
	v_add_co_ci_u32_e32 v14, vcc_lo, s3, v50, vcc_lo
	v_add_co_u32 v53, vcc_lo, v13, s2
	global_load_b64 v[49:50], v[49:50], off
	;; [unrolled: 3-line block ×3, first 2 shown]
	v_add_co_ci_u32_e32 v56, vcc_lo, s3, v54, vcc_lo
	v_add_co_u32 v57, vcc_lo, v55, s2
	s_delay_alu instid0(VALU_DEP_2) | instskip(NEXT) | instid1(VALU_DEP_2)
	v_add_co_ci_u32_e32 v58, vcc_lo, s3, v56, vcc_lo
	v_add_co_u32 v59, vcc_lo, v57, s2
	s_delay_alu instid0(VALU_DEP_2) | instskip(NEXT) | instid1(VALU_DEP_2)
	v_add_co_ci_u32_e32 v60, vcc_lo, s3, v58, vcc_lo
	v_add_co_u32 v13, vcc_lo, v59, s15
	s_delay_alu instid0(VALU_DEP_2)
	v_add_co_ci_u32_e32 v14, vcc_lo, s4, v60, vcc_lo
	global_load_b64 v[53:54], v[53:54], off
	global_load_b64 v[55:56], v[55:56], off
	;; [unrolled: 1-line block ×5, first 2 shown]
	v_add_co_u32 v13, vcc_lo, v13, s2
	v_add_co_ci_u32_e32 v14, vcc_lo, s3, v14, vcc_lo
	s_clause 0x1
	global_load_b64 v[102:103], v0, s[8:9] offset:544
	global_load_b64 v[106:107], v0, s[8:9] offset:1224
	v_add_co_u32 v65, vcc_lo, v13, s2
	v_add_co_ci_u32_e32 v66, vcc_lo, s3, v14, vcc_lo
	global_load_b64 v[67:68], v[13:14], off
	v_add_co_u32 v13, vcc_lo, v65, s2
	v_add_co_ci_u32_e32 v14, vcc_lo, s3, v66, vcc_lo
	s_delay_alu instid0(VALU_DEP_2) | instskip(NEXT) | instid1(VALU_DEP_2)
	v_add_co_u32 v69, vcc_lo, v13, s2
	v_add_co_ci_u32_e32 v70, vcc_lo, s3, v14, vcc_lo
	global_load_b64 v[65:66], v[65:66], off
	global_load_b64 v[84:85], v0, s[8:9] offset:1904
	global_load_b64 v[71:72], v[13:14], off
	global_load_b64 v[86:87], v0, s[8:9] offset:2584
	global_load_b64 v[73:74], v[69:70], off
	v_add_co_u32 v13, vcc_lo, v69, s2
	v_add_co_ci_u32_e32 v14, vcc_lo, s3, v70, vcc_lo
	global_load_b64 v[82:83], v0, s[8:9] offset:3264
	v_add_co_u32 v69, vcc_lo, v13, s2
	v_add_co_ci_u32_e32 v70, vcc_lo, s3, v14, vcc_lo
	global_load_b64 v[75:76], v[13:14], off
	s_clause 0x1
	global_load_b64 v[90:91], v0, s[8:9] offset:3944
	global_load_b64 v[92:93], v[6:7], off offset:528
	global_load_b64 v[5:6], v[69:70], off
	v_mul_hi_u32 v7, 0xaaaaaaab, v77
	s_load_b64 s[2:3], s[0:1], 0x38
	v_add_co_u32 v235, s0, v118, 17
	v_mov_b32_e32 v13, v77
	s_load_b128 s[4:7], s[6:7], 0x0
	v_cmp_eq_u16_e32 vcc_lo, 0, v12
	s_delay_alu instid0(VALU_DEP_4) | instskip(SKIP_2) | instid1(VALU_DEP_1)
	v_lshrrev_b32_e32 v7, 1, v7
	scratch_store_b64 off, v[13:14], off offset:160 ; 8-byte Folded Spill
	v_lshl_add_u32 v7, v7, 1, v7
	v_sub_nc_u32_e32 v7, v77, v7
	s_delay_alu instid0(VALU_DEP_1) | instskip(NEXT) | instid1(VALU_DEP_1)
	v_mul_u32_u24_e32 v7, 0x253, v7
	v_lshlrev_b32_e32 v151, 3, v7
	s_delay_alu instid0(VALU_DEP_1)
	v_add_nc_u32_e32 v255, v0, v151
	v_add_co_ci_u32_e64 v0, null, 0, 0, s0
	s_waitcnt vmcnt(62)
	s_clause 0x3
	scratch_store_b64 off, v[141:142], off offset:256
	scratch_store_b64 off, v[145:146], off offset:272
	;; [unrolled: 1-line block ×4, first 2 shown]
	s_waitcnt vmcnt(57)
	scratch_store_b64 off, v[149:150], off offset:288 ; 8-byte Folded Spill
	s_waitcnt vmcnt(47)
	scratch_store_b64 off, v[108:109], off offset:120 ; 8-byte Folded Spill
	s_waitcnt vmcnt(46)
	v_mul_f32_e32 v0, v2, v150
	v_dual_mul_f32 v69, v1, v150 :: v_dual_add_nc_u32 v14, 0x800, v255
	v_add_nc_u32_e32 v79, 0xc00, v255
	s_delay_alu instid0(VALU_DEP_3) | instskip(NEXT) | instid1(VALU_DEP_3)
	v_dual_fmac_f32 v0, v1, v149 :: v_dual_add_nc_u32 v13, 0x1000, v255
	v_fma_f32 v1, v2, v149, -v69
	s_waitcnt vmcnt(45)
	v_mul_f32_e32 v2, v4, v148
	v_mul_f32_e32 v77, v3, v148
	s_waitcnt vmcnt(44)
	v_mul_f32_e32 v7, v9, v109
	s_waitcnt vmcnt(43)
	v_dual_mul_f32 v70, v8, v109 :: v_dual_mul_f32 v69, v11, v146
	s_delay_alu instid0(VALU_DEP_2) | instskip(SKIP_2) | instid1(VALU_DEP_4)
	v_dual_fmac_f32 v7, v8, v108 :: v_dual_fmac_f32 v2, v3, v147
	v_fma_f32 v3, v4, v147, -v77
	v_mul_f32_e32 v4, v10, v146
	v_fma_f32 v8, v9, v108, -v70
	s_waitcnt vmcnt(42)
	v_dual_fmac_f32 v69, v10, v145 :: v_dual_mul_f32 v10, v27, v142
	s_waitcnt vmcnt(41)
	v_dual_mul_f32 v9, v28, v142 :: v_dual_mul_f32 v78, v15, v140
	v_mul_f32_e32 v77, v16, v140
	v_fma_f32 v70, v11, v145, -v4
	v_fma_f32 v10, v28, v141, -v10
	s_waitcnt vmcnt(40)
	v_dual_fmac_f32 v9, v27, v141 :: v_dual_mul_f32 v4, v17, v144
	v_fmac_f32_e32 v77, v15, v139
	v_fma_f32 v78, v16, v139, -v78
	v_mul_f32_e32 v15, v18, v144
	ds_store_b64 v255, v[2:3] offset:680
	ds_store_b64 v255, v[69:70] offset:1360
	ds_store_b64 v255, v[9:10] offset:2040
	ds_store_b64 v255, v[77:78] offset:2720
	s_waitcnt vmcnt(39)
	v_mul_f32_e32 v3, v19, v138
	v_mul_f32_e32 v2, v20, v138
	v_fma_f32 v16, v18, v143, -v4
	v_fmac_f32_e32 v15, v17, v143
	s_clause 0x2
	scratch_store_b64 off, v[143:144], off offset:264
	scratch_store_b64 off, v[137:138], off offset:240
	;; [unrolled: 1-line block ×3, first 2 shown]
	s_waitcnt vmcnt(37)
	v_mul_f32_e32 v9, v22, v132
	v_mul_f32_e32 v10, v21, v132
	v_fmac_f32_e32 v2, v19, v137
	v_fma_f32 v3, v20, v137, -v3
	ds_store_b64 v255, v[15:16] offset:3400
	ds_store_b64 v255, v[2:3] offset:4080
	v_fmac_f32_e32 v9, v21, v131
	v_fma_f32 v10, v22, v131, -v10
	s_waitcnt vmcnt(36)
	v_dual_mul_f32 v17, v24, v130 :: v_dual_mul_f32 v4, v41, v136
	s_waitcnt vmcnt(35)
	v_dual_mul_f32 v3, v23, v130 :: v_dual_mul_f32 v2, v26, v128
	ds_store_2addr_b64 v255, v[0:1], v[9:10] offset1:17
	s_waitcnt vmcnt(34)
	v_mul_f32_e32 v10, v29, v124
	v_mul_f32_e32 v1, v25, v128
	v_fma_f32 v18, v24, v129, -v3
	v_dual_fmac_f32 v17, v23, v129 :: v_dual_fmac_f32 v2, v25, v127
	v_mul_f32_e32 v9, v30, v124
	s_delay_alu instid0(VALU_DEP_4)
	v_fma_f32 v3, v26, v127, -v1
	v_fma_f32 v1, v42, v135, -v4
	s_waitcnt vmcnt(31)
	v_dual_mul_f32 v4, v31, v120 :: v_dual_mul_f32 v19, v34, v134
	v_dual_mul_f32 v11, v33, v134 :: v_dual_mul_f32 v0, v42, v136
	v_mul_f32_e32 v15, v32, v120
	s_delay_alu instid0(VALU_DEP_3) | instskip(SKIP_4) | instid1(VALU_DEP_3)
	v_fma_f32 v16, v32, v119, -v4
	s_waitcnt vmcnt(30)
	v_dual_mul_f32 v4, v35, v122 :: v_dual_fmac_f32 v19, v33, v133
	v_fma_f32 v20, v34, v133, -v11
	v_dual_fmac_f32 v0, v41, v135 :: v_dual_mul_f32 v21, v36, v122
	v_fma_f32 v22, v36, v121, -v4
	v_fma_f32 v10, v30, v123, -v10
	ds_store_2addr_b64 v13, v[19:20], v[7:8] offset0:15 offset1:32
	s_waitcnt vmcnt(24)
	v_mul_f32_e32 v23, v38, v113
	v_mul_f32_e32 v11, v37, v113
	;; [unrolled: 1-line block ×3, first 2 shown]
	s_waitcnt vmcnt(23)
	v_mul_f32_e32 v25, v40, v115
	v_dual_mul_f32 v4, v39, v115 :: v_dual_fmac_f32 v23, v37, v112
	v_fma_f32 v24, v38, v112, -v11
	v_fmac_f32_e32 v7, v51, v116
	s_delay_alu instid0(VALU_DEP_4) | instskip(NEXT) | instid1(VALU_DEP_4)
	v_fmac_f32_e32 v25, v39, v114
	v_fma_f32 v26, v40, v114, -v4
	v_dual_mul_f32 v4, v51, v117 :: v_dual_fmac_f32 v9, v29, v123
	s_clause 0x1
	scratch_store_b64 off, v[129:130], off offset:208
	scratch_store_b64 off, v[133:134], off offset:224
	ds_store_2addr_b64 v255, v[2:3], v[25:26] offset0:187 offset1:204
	s_waitcnt vmcnt(22)
	v_mul_f32_e32 v3, v43, v126
	v_fma_f32 v8, v52, v116, -v4
	s_waitcnt vmcnt(21)
	v_mul_f32_e32 v2, v46, v111
	ds_store_2addr_b64 v255, v[17:18], v[23:24] offset0:102 offset1:119
	v_dual_mul_f32 v17, v44, v126 :: v_dual_mul_f32 v4, v45, v111
	s_waitcnt vmcnt(20)
	v_mul_f32_e32 v19, v48, v105
	v_mul_f32_e32 v11, v47, v105
	v_fma_f32 v18, v44, v125, -v3
	ds_store_2addr_b64 v14, v[0:1], v[7:8] offset0:16 offset1:33
	v_fma_f32 v3, v46, v110, -v4
	v_fmac_f32_e32 v19, v47, v104
	v_fma_f32 v20, v48, v104, -v11
	s_waitcnt vmcnt(19)
	v_dual_mul_f32 v0, v50, v99 :: v_dual_fmac_f32 v21, v35, v121
	v_dual_fmac_f32 v15, v31, v119 :: v_dual_fmac_f32 v2, v45, v110
	s_clause 0xa
	scratch_store_b64 off, v[127:128], off offset:200
	scratch_store_b64 off, v[125:126], off offset:192
	;; [unrolled: 1-line block ×11, first 2 shown]
	s_waitcnt vmcnt(17)
	v_mul_f32_e32 v4, v53, v81
	v_fmac_f32_e32 v0, v49, v98
	v_mul_f32_e32 v1, v49, v99
	s_waitcnt vmcnt(15)
	v_mul_f32_e32 v11, v57, v97
	v_mul_f32_e32 v7, v54, v81
	v_fma_f32 v8, v54, v80, -v4
                                        ; implicit-def: $vgpr126
	v_fma_f32 v1, v50, v98, -v1
	s_waitcnt vmcnt(12)
	s_delay_alu instid0(VALU_DEP_3)
	v_dual_mul_f32 v4, v63, v103 :: v_dual_fmac_f32 v7, v53, v80
	s_waitcnt vmcnt(2)
	v_mul_f32_e32 v24, v75, v91
	v_fmac_f32_e32 v17, v43, v125
	ds_store_2addr_b64 v14, v[9:10], v[17:18] offset0:101 offset1:118
	ds_store_2addr_b64 v14, v[15:16], v[2:3] offset0:186 offset1:203
	ds_store_2addr_b64 v255, v[21:22], v[19:20] offset0:34 offset1:51
	v_mul_f32_e32 v19, v64, v103
	v_mul_f32_e32 v21, v68, v107
	;; [unrolled: 1-line block ×3, first 2 shown]
	v_fma_f32 v20, v64, v102, -v4
	v_fma_f32 v16, v58, v96, -v11
	v_fmac_f32_e32 v19, v63, v102
	v_fmac_f32_e32 v21, v67, v106
	v_fma_f32 v22, v68, v106, -v18
	v_mul_f32_e32 v11, v59, v89
	v_mul_f32_e32 v4, v65, v85
	;; [unrolled: 1-line block ×4, first 2 shown]
	ds_store_b64 v255, v[19:20] offset:544
	v_mul_f32_e32 v19, v66, v85
	ds_store_2addr_b64 v255, v[0:1], v[21:22] offset0:136 offset1:153
	v_mul_f32_e32 v0, v72, v87
	v_mul_f32_e32 v1, v71, v87
	;; [unrolled: 1-line block ×4, first 2 shown]
	v_fma_f32 v18, v60, v88, -v11
	v_mul_f32_e32 v21, v74, v83
	v_mul_f32_e32 v11, v73, v83
	;; [unrolled: 1-line block ×5, first 2 shown]
	v_fma_f32 v20, v66, v84, -v4
	s_waitcnt vmcnt(0)
	v_mul_f32_e32 v4, v6, v93
	v_mul_f32_e32 v25, v5, v93
	v_fmac_f32_e32 v2, v61, v100
	v_fma_f32 v3, v62, v100, -v3
	v_dual_fmac_f32 v19, v65, v84 :: v_dual_fmac_f32 v0, v71, v86
	v_fma_f32 v1, v72, v86, -v1
	v_fmac_f32_e32 v9, v55, v94
	v_fma_f32 v10, v56, v94, -v10
	v_fmac_f32_e32 v21, v73, v82
	;; [unrolled: 2-line block ×3, first 2 shown]
	v_fmac_f32_e32 v23, v75, v90
	v_fma_f32 v24, v76, v90, -v24
	v_fmac_f32_e32 v17, v59, v88
	v_fmac_f32_e32 v4, v5, v92
	v_fma_f32 v5, v6, v92, -v25
	s_clause 0xc
	scratch_store_b64 off, v[98:99], off offset:80
	scratch_store_b64 off, v[100:101], off offset:88
	;; [unrolled: 1-line block ×13, first 2 shown]
	ds_store_2addr_b64 v255, v[2:3], v[19:20] offset0:221 offset1:238
	ds_store_2addr_b64 v14, v[7:8], v[0:1] offset0:50 offset1:67
	;; [unrolled: 1-line block ×5, first 2 shown]
	s_waitcnt lgkmcnt(0)
	s_waitcnt_vscnt null, 0x0
	s_barrier
	buffer_gl0_inv
	ds_load_2addr_b64 v[0:3], v255 offset0:68 offset1:85
	ds_load_2addr_b64 v[15:18], v79 offset0:126 offset1:143
	;; [unrolled: 1-line block ×4, first 2 shown]
	scratch_store_b32 off, v118, off        ; 4-byte Folded Spill
	ds_load_2addr_b64 v[23:26], v255 offset1:17
	ds_load_2addr_b64 v[8:11], v255 offset0:238 offset1:255
	ds_load_2addr_b64 v[27:30], v14 offset0:84 offset1:101
	;; [unrolled: 1-line block ×12, first 2 shown]
	ds_load_b64 v[71:72], v255 offset:4624
	s_waitcnt lgkmcnt(0)
	s_waitcnt_vscnt null, 0x0
	s_barrier
	buffer_gl0_inv
	v_add_co_u32 v94, null, v118, 51
	v_add_co_u32 v93, null, 0x44, v118
	v_add_f32_e32 v78, v48, v42
	v_sub_f32_e32 v42, v48, v42
	v_add_f32_e32 v76, v34, v56
	v_add_f32_e32 v74, v3, v16
	v_dual_sub_f32 v3, v3, v16 :: v_dual_add_f32 v16, v20, v7
	v_dual_sub_f32 v7, v20, v7 :: v_dual_add_f32 v20, v11, v28
	v_sub_f32_e32 v11, v28, v11
	v_add_f32_e32 v28, v32, v18
	v_sub_f32_e32 v18, v32, v18
	v_add_f32_e32 v32, v22, v40
	;; [unrolled: 2-line block ×3, first 2 shown]
	v_sub_f32_e32 v30, v30, v36
	v_sub_f32_e32 v56, v34, v56
	v_dual_add_f32 v34, v16, v74 :: v_dual_add_f32 v73, v2, v15
	v_sub_f32_e32 v2, v2, v15
	v_sub_f32_e32 v36, v16, v74
	;; [unrolled: 1-line block ×4, first 2 shown]
	v_add_f32_e32 v88, v30, v22
	v_sub_f32_e32 v90, v30, v22
	v_sub_f32_e32 v30, v18, v30
	v_add_f32_e32 v80, v11, v7
	v_add_f32_e32 v15, v19, v6
	v_dual_sub_f32 v6, v19, v6 :: v_dual_add_f32 v19, v10, v27
	v_add_f32_e32 v20, v20, v34
	v_sub_f32_e32 v10, v27, v10
	v_dual_add_f32 v27, v31, v17 :: v_dual_sub_f32 v22, v22, v18
	v_dual_sub_f32 v17, v31, v17 :: v_dual_mul_f32 v74, 0x3f4a47b2, v74
	v_add_f32_e32 v31, v21, v39
	v_sub_f32_e32 v82, v11, v7
	v_dual_sub_f32 v21, v21, v39 :: v_dual_add_f32 v48, v38, v52
	v_dual_sub_f32 v11, v3, v11 :: v_dual_add_f32 v84, v32, v28
	v_sub_f32_e32 v86, v32, v28
	v_sub_f32_e32 v28, v28, v40
	v_dual_sub_f32 v32, v40, v32 :: v_dual_add_f32 v77, v47, v41
	v_sub_f32_e32 v41, v47, v41
	v_add_f32_e32 v47, v37, v51
	v_add_f32_e32 v34, v80, v3
	v_sub_f32_e32 v7, v7, v3
	v_dual_add_f32 v39, v35, v29 :: v_dual_mul_f32 v80, 0x3d64c772, v16
	v_dual_add_f32 v83, v31, v27 :: v_dual_mul_f32 v82, 0xbf08b237, v82
	v_dual_sub_f32 v37, v51, v37 :: v_dual_sub_f32 v38, v52, v38
	v_add_f32_e32 v3, v24, v20
	v_dual_sub_f32 v29, v29, v35 :: v_dual_add_f32 v40, v40, v84
	v_dual_add_f32 v75, v33, v55 :: v_dual_add_f32 v18, v88, v18
	v_dual_sub_f32 v55, v33, v55 :: v_dual_mul_f32 v28, 0x3f4a47b2, v28
	v_dual_add_f32 v33, v15, v73 :: v_dual_fmamk_f32 v16, v16, 0x3d64c772, v74
	v_sub_f32_e32 v85, v31, v27
	v_mul_f32_e32 v92, 0x3f5ff5aa, v7
	v_sub_f32_e32 v27, v27, v39
	v_sub_f32_e32 v31, v39, v31
	v_add_f32_e32 v39, v39, v83
	v_dual_sub_f32 v35, v15, v73 :: v_dual_mul_f32 v84, 0x3d64c772, v32
	v_mul_f32_e32 v88, 0xbf08b237, v90
	v_mul_f32_e32 v90, 0x3f5ff5aa, v22
	v_fma_f32 v24, 0x3f3bfb3b, v36, -v80
	v_fma_f32 v36, 0xbf3bfb3b, v36, -v74
	v_dual_fmamk_f32 v20, v20, 0xbf955555, v3 :: v_dual_sub_f32 v73, v73, v19
	v_fmamk_f32 v74, v11, 0x3eae86e6, v82
	v_sub_f32_e32 v15, v19, v15
	s_delay_alu instid0(VALU_DEP_3) | instskip(SKIP_1) | instid1(VALU_DEP_4)
	v_dual_sub_f32 v89, v29, v21 :: v_dual_add_f32 v24, v24, v20
	v_mul_f32_e32 v27, 0x3f4a47b2, v27
	v_fmac_f32_e32 v74, 0x3ee1c552, v34
	v_fma_f32 v80, 0x3f5ff5aa, v7, -v82
	v_fma_f32 v82, 0xbeae86e6, v11, -v92
	v_add_f32_e32 v7, v26, v40
	v_fmamk_f32 v11, v32, 0x3d64c772, v28
	v_fma_f32 v26, 0x3f3bfb3b, v86, -v84
	v_fma_f32 v28, 0xbf3bfb3b, v86, -v28
	v_fmamk_f32 v84, v30, 0x3eae86e6, v88
	v_fma_f32 v86, 0xbeae86e6, v30, -v90
	v_add_f32_e32 v87, v29, v21
	v_sub_f32_e32 v29, v17, v29
	v_sub_f32_e32 v21, v21, v17
	v_add_f32_e32 v19, v19, v33
	v_add_f32_e32 v79, v10, v6
	v_fmac_f32_e32 v84, 0x3ee1c552, v18
	v_sub_f32_e32 v81, v10, v6
	v_dual_fmac_f32 v86, 0x3ee1c552, v18 :: v_dual_add_f32 v17, v87, v17
	v_dual_add_f32 v30, v16, v20 :: v_dual_mul_f32 v87, 0xbf08b237, v89
	v_sub_f32_e32 v10, v2, v10
	v_dual_sub_f32 v6, v6, v2 :: v_dual_mul_f32 v73, 0x3f4a47b2, v73
	v_mul_f32_e32 v81, 0xbf08b237, v81
	v_fmac_f32_e32 v80, 0x3ee1c552, v34
	v_fmac_f32_e32 v82, 0x3ee1c552, v34
	v_add_f32_e32 v34, v36, v20
	v_fma_f32 v32, 0x3f5ff5aa, v21, -v87
	v_add_f32_e32 v33, v79, v2
	v_mul_f32_e32 v79, 0x3d64c772, v15
	v_dual_mul_f32 v91, 0x3f5ff5aa, v6 :: v_dual_add_f32 v2, v23, v19
	v_fmamk_f32 v15, v15, 0x3d64c772, v73
	v_fmac_f32_e32 v32, 0x3ee1c552, v17
	s_delay_alu instid0(VALU_DEP_4)
	v_fma_f32 v23, 0x3f3bfb3b, v35, -v79
	v_fma_f32 v79, 0x3f5ff5aa, v6, -v81
	v_add_f32_e32 v6, v25, v39
	v_fma_f32 v35, 0xbf3bfb3b, v35, -v73
	v_fmamk_f32 v73, v10, 0x3eae86e6, v81
	v_fma_f32 v81, 0xbeae86e6, v10, -v91
	v_fmamk_f32 v10, v31, 0x3d64c772, v27
	v_dual_fmac_f32 v79, 0x3ee1c552, v33 :: v_dual_sub_f32 v52, v78, v76
	s_delay_alu instid0(VALU_DEP_4) | instskip(SKIP_4) | instid1(VALU_DEP_3)
	v_fmac_f32_e32 v73, 0x3ee1c552, v33
	v_mul_f32_e32 v83, 0x3d64c772, v31
	v_fma_f32 v31, 0x3f5ff5aa, v22, -v88
	v_fmamk_f32 v22, v40, 0xbf955555, v7
	v_dual_sub_f32 v20, v24, v79 :: v_dual_fmac_f32 v81, 0x3ee1c552, v33
	v_fmac_f32_e32 v31, 0x3ee1c552, v18
	s_delay_alu instid0(VALU_DEP_3)
	v_dual_add_f32 v40, v26, v22 :: v_dual_mul_f32 v89, 0x3f5ff5aa, v21
	v_fmamk_f32 v19, v19, 0xbf955555, v2
	v_dual_add_f32 v36, v11, v22 :: v_dual_sub_f32 v11, v30, v73
	v_add_f32_e32 v18, v79, v24
	v_fma_f32 v27, 0xbf3bfb3b, v85, -v27
	v_add_f32_e32 v24, v73, v30
	v_fma_f32 v25, 0x3f3bfb3b, v85, -v83
	;; [unrolled: 2-line block ×3, first 2 shown]
	v_fmamk_f32 v83, v29, 0x3eae86e6, v87
	v_dual_add_f32 v23, v23, v19 :: v_dual_add_f32 v88, v28, v22
	s_delay_alu instid0(VALU_DEP_3) | instskip(NEXT) | instid1(VALU_DEP_3)
	v_dual_sub_f32 v32, v40, v32 :: v_dual_fmac_f32 v85, 0x3ee1c552, v17
	v_dual_add_f32 v40, v78, v76 :: v_dual_fmac_f32 v83, 0x3ee1c552, v17
	v_add_f32_e32 v33, v35, v19
	s_delay_alu instid0(VALU_DEP_3) | instskip(NEXT) | instid1(VALU_DEP_3)
	v_dual_sub_f32 v17, v23, v80 :: v_dual_sub_f32 v28, v88, v85
	v_dual_add_f32 v40, v48, v40 :: v_dual_add_f32 v29, v15, v19
	v_dual_add_f32 v19, v80, v23 :: v_dual_sub_f32 v80, v38, v42
	v_dual_add_f32 v22, v81, v34 :: v_dual_fmamk_f32 v21, v39, 0xbf955555, v6
	s_delay_alu instid0(VALU_DEP_3)
	v_sub_f32_e32 v23, v29, v74
	v_add_f32_e32 v15, v82, v33
	v_sub_f32_e32 v73, v75, v47
	v_sub_f32_e32 v79, v37, v41
	v_dual_add_f32 v35, v10, v21 :: v_dual_add_f32 v10, v29, v74
	v_sub_f32_e32 v74, v76, v48
	v_sub_f32_e32 v76, v48, v78
	v_dual_add_f32 v78, v38, v42 :: v_dual_add_f32 v87, v27, v21
	v_dual_sub_f32 v42, v42, v56 :: v_dual_add_f32 v39, v25, v21
	v_sub_f32_e32 v21, v33, v82
	v_sub_f32_e32 v82, v56, v38
	s_delay_alu instid0(VALU_DEP_4)
	v_add_f32_e32 v48, v78, v56
	v_add_f32_e32 v38, v44, v40
	v_mul_f32_e32 v44, 0x3f4a47b2, v74
	v_mul_f32_e32 v56, 0x3d64c772, v76
	;; [unrolled: 1-line block ×4, first 2 shown]
	v_fmamk_f32 v40, v40, 0xbf955555, v38
	v_fmamk_f32 v76, v76, 0x3d64c772, v44
	v_fma_f32 v56, 0x3f3bfb3b, v52, -v56
	v_fma_f32 v44, 0xbf3bfb3b, v52, -v44
	v_fmamk_f32 v80, v82, 0x3eae86e6, v74
	v_fma_f32 v52, 0x3f5ff5aa, v42, -v74
	v_sub_f32_e32 v29, v39, v31
	v_fma_f32 v74, 0xbeae86e6, v82, -v78
	v_add_f32_e32 v56, v56, v40
	v_add_f32_e32 v78, v44, v40
	v_dual_fmac_f32 v52, 0x3ee1c552, v48 :: v_dual_add_f32 v31, v31, v39
	v_dual_add_f32 v39, v77, v75 :: v_dual_add_f32 v76, v76, v40
	v_sub_f32_e32 v51, v77, v75
	v_sub_f32_e32 v75, v47, v77
	v_add_f32_e32 v77, v37, v41
	s_delay_alu instid0(VALU_DEP_4) | instskip(SKIP_2) | instid1(VALU_DEP_4)
	v_dual_add_f32 v39, v47, v39 :: v_dual_sub_f32 v16, v34, v81
	v_sub_f32_e32 v81, v55, v37
	v_sub_f32_e32 v41, v41, v55
	v_add_f32_e32 v47, v77, v55
	s_delay_alu instid0(VALU_DEP_4)
	v_add_f32_e32 v37, v43, v39
	v_mul_f32_e32 v43, 0x3f4a47b2, v73
	v_mul_f32_e32 v55, 0x3d64c772, v75
	;; [unrolled: 1-line block ×4, first 2 shown]
	v_fmamk_f32 v39, v39, 0xbf955555, v37
	v_fmamk_f32 v75, v75, 0x3d64c772, v43
	v_fma_f32 v55, 0x3f3bfb3b, v51, -v55
	v_fma_f32 v43, 0xbf3bfb3b, v51, -v43
	;; [unrolled: 1-line block ×3, first 2 shown]
	v_dual_add_f32 v27, v86, v87 :: v_dual_fmac_f32 v74, 0x3ee1c552, v48
	v_fmamk_f32 v79, v81, 0x3eae86e6, v73
	v_fma_f32 v73, 0xbeae86e6, v81, -v77
	v_add_f32_e32 v77, v43, v39
	v_fmac_f32_e32 v51, 0x3ee1c552, v47
	v_dual_sub_f32 v33, v87, v86 :: v_dual_fmac_f32 v80, 0x3ee1c552, v48
	s_delay_alu instid0(VALU_DEP_3) | instskip(NEXT) | instid1(VALU_DEP_3)
	v_dual_sub_f32 v26, v36, v83 :: v_dual_add_f32 v41, v74, v77
	v_add_f32_e32 v44, v51, v56
	v_dual_sub_f32 v48, v56, v51 :: v_dual_sub_f32 v51, v77, v74
	v_add_f32_e32 v74, v60, v58
	v_sub_f32_e32 v58, v60, v58
	v_add_f32_e32 v60, v50, v68
	v_sub_f32_e32 v50, v50, v68
	;; [unrolled: 2-line block ×3, first 2 shown]
	v_add_f32_e32 v34, v85, v88
	v_add_f32_e32 v64, v60, v74
	;; [unrolled: 1-line block ×3, first 2 shown]
	s_delay_alu instid0(VALU_DEP_2) | instskip(NEXT) | instid1(VALU_DEP_1)
	v_dual_add_f32 v64, v68, v64 :: v_dual_add_f32 v75, v75, v39
	v_add_f32_e32 v46, v46, v64
	s_delay_alu instid0(VALU_DEP_1) | instskip(SKIP_1) | instid1(VALU_DEP_1)
	v_fmamk_f32 v64, v64, 0xbf955555, v46
	v_fmac_f32_e32 v79, 0x3ee1c552, v47
	v_dual_add_f32 v25, v35, v84 :: v_dual_sub_f32 v40, v76, v79
	v_add_f32_e32 v56, v79, v76
	v_sub_f32_e32 v76, v60, v74
	v_sub_f32_e32 v74, v74, v68
	v_dual_sub_f32 v60, v68, v60 :: v_dual_add_f32 v55, v55, v39
	s_delay_alu instid0(VALU_DEP_2) | instskip(NEXT) | instid1(VALU_DEP_2)
	v_dual_add_f32 v39, v75, v80 :: v_dual_mul_f32 v68, 0x3f4a47b2, v74
	v_mul_f32_e32 v74, 0x3d64c772, v60
	s_delay_alu instid0(VALU_DEP_2) | instskip(NEXT) | instid1(VALU_DEP_2)
	v_dual_sub_f32 v43, v55, v52 :: v_dual_fmamk_f32 v60, v60, 0x3d64c772, v68
	v_fma_f32 v74, 0x3f3bfb3b, v76, -v74
	v_fma_f32 v68, 0xbf3bfb3b, v76, -v68
	v_fmac_f32_e32 v73, 0x3ee1c552, v47
	v_add_f32_e32 v47, v52, v55
	v_dual_sub_f32 v55, v75, v80 :: v_dual_sub_f32 v80, v54, v50
	v_add_f32_e32 v82, v60, v64
	v_add_f32_e32 v60, v74, v64
	;; [unrolled: 1-line block ×3, first 2 shown]
	v_dual_sub_f32 v35, v35, v84 :: v_dual_add_f32 v52, v73, v78
	v_sub_f32_e32 v42, v78, v73
	v_add_f32_e32 v78, v54, v50
	v_sub_f32_e32 v50, v50, v58
	v_sub_f32_e32 v54, v58, v54
	v_add_f32_e32 v74, v62, v72
	v_sub_f32_e32 v62, v62, v72
	v_add_f32_e32 v58, v78, v58
	v_mul_f32_e32 v78, 0xbf08b237, v80
	v_mul_f32_e32 v80, 0x3f5ff5aa, v50
	v_add_f32_e32 v72, v9, v70
	v_dual_sub_f32 v9, v9, v70 :: v_dual_add_f32 v70, v66, v5
	s_delay_alu instid0(VALU_DEP_4)
	v_fmamk_f32 v76, v54, 0x3eae86e6, v78
	v_fma_f32 v78, 0x3f5ff5aa, v50, -v78
	v_fma_f32 v80, 0xbeae86e6, v54, -v80
	v_add_f32_e32 v73, v59, v57
	v_sub_f32_e32 v57, v59, v57
	v_add_f32_e32 v59, v49, v67
	v_sub_f32_e32 v49, v49, v67
	v_add_f32_e32 v67, v63, v53
	v_dual_sub_f32 v53, v53, v63 :: v_dual_fmac_f32 v78, 0x3ee1c552, v58
	s_delay_alu instid0(VALU_DEP_4) | instskip(SKIP_1) | instid1(VALU_DEP_3)
	v_dual_fmac_f32 v80, 0x3ee1c552, v58 :: v_dual_sub_f32 v75, v59, v73
	v_sub_f32_e32 v5, v5, v66
	v_dual_add_f32 v77, v53, v49 :: v_dual_add_f32 v66, v72, v74
	v_sub_f32_e32 v79, v53, v49
	v_sub_f32_e32 v49, v49, v57
	;; [unrolled: 1-line block ×3, first 2 shown]
	s_delay_alu instid0(VALU_DEP_4) | instskip(NEXT) | instid1(VALU_DEP_4)
	v_dual_add_f32 v57, v77, v57 :: v_dual_add_f32 v66, v70, v66
	v_mul_f32_e32 v77, 0xbf08b237, v79
	s_delay_alu instid0(VALU_DEP_4) | instskip(SKIP_1) | instid1(VALU_DEP_4)
	v_mul_f32_e32 v79, 0x3f5ff5aa, v49
	v_fmac_f32_e32 v76, 0x3ee1c552, v58
	v_add_f32_e32 v1, v1, v66
	s_delay_alu instid0(VALU_DEP_3) | instskip(NEXT) | instid1(VALU_DEP_2)
	v_fma_f32 v79, 0xbeae86e6, v53, -v79
	v_fmamk_f32 v66, v66, 0xbf955555, v1
	s_delay_alu instid0(VALU_DEP_2) | instskip(SKIP_3) | instid1(VALU_DEP_4)
	v_fmac_f32_e32 v79, 0x3ee1c552, v57
	v_add_f32_e32 v63, v59, v73
	v_sub_f32_e32 v73, v73, v67
	v_sub_f32_e32 v59, v67, v59
	;; [unrolled: 1-line block ×3, first 2 shown]
	s_delay_alu instid0(VALU_DEP_4) | instskip(NEXT) | instid1(VALU_DEP_4)
	v_add_f32_e32 v63, v67, v63
	v_mul_f32_e32 v67, 0x3f4a47b2, v73
	s_delay_alu instid0(VALU_DEP_4) | instskip(NEXT) | instid1(VALU_DEP_3)
	v_dual_mul_f32 v73, 0x3d64c772, v59 :: v_dual_add_f32 v64, v79, v64
	v_add_f32_e32 v45, v45, v63
	s_delay_alu instid0(VALU_DEP_3) | instskip(NEXT) | instid1(VALU_DEP_3)
	v_fmamk_f32 v59, v59, 0x3d64c772, v67
	v_fma_f32 v73, 0x3f3bfb3b, v75, -v73
	v_fma_f32 v67, 0xbf3bfb3b, v75, -v67
	s_delay_alu instid0(VALU_DEP_4) | instskip(NEXT) | instid1(VALU_DEP_1)
	v_fmamk_f32 v63, v63, 0xbf955555, v45
	v_add_f32_e32 v81, v59, v63
	s_delay_alu instid0(VALU_DEP_4)
	v_add_f32_e32 v59, v73, v63
	v_add_f32_e32 v73, v61, v71
	v_sub_f32_e32 v61, v61, v71
	v_add_f32_e32 v71, v8, v69
	v_dual_sub_f32 v8, v8, v69 :: v_dual_add_f32 v69, v65, v4
	v_dual_sub_f32 v4, v4, v65 :: v_dual_fmamk_f32 v75, v53, 0x3eae86e6, v77
	v_fma_f32 v77, 0x3f5ff5aa, v49, -v77
	s_delay_alu instid0(VALU_DEP_4) | instskip(NEXT) | instid1(VALU_DEP_3)
	v_add_f32_e32 v65, v71, v73
	v_sub_f32_e32 v79, v4, v8
	s_delay_alu instid0(VALU_DEP_3) | instskip(NEXT) | instid1(VALU_DEP_3)
	v_fmac_f32_e32 v77, 0x3ee1c552, v57
	v_add_f32_e32 v65, v69, v65
	s_delay_alu instid0(VALU_DEP_2)
	v_add_f32_e32 v58, v77, v60
	v_sub_f32_e32 v60, v60, v77
	v_add_f32_e32 v77, v4, v8
	v_sub_f32_e32 v8, v8, v61
	v_fmac_f32_e32 v75, 0x3ee1c552, v57
	v_sub_f32_e32 v57, v59, v78
	v_dual_add_f32 v59, v78, v59 :: v_dual_add_f32 v78, v5, v9
	v_dual_add_f32 v63, v67, v63 :: v_dual_add_f32 v0, v0, v65
	v_add_f32_e32 v49, v81, v76
	v_dual_sub_f32 v67, v81, v76 :: v_dual_sub_f32 v76, v72, v74
	v_sub_f32_e32 v74, v74, v70
	s_delay_alu instid0(VALU_DEP_4) | instskip(SKIP_1) | instid1(VALU_DEP_3)
	v_dual_sub_f32 v72, v70, v72 :: v_dual_fmamk_f32 v65, v65, 0xbf955555, v0
	v_mul_lo_u16 v81, v12, 7
	v_mul_f32_e32 v70, 0x3f4a47b2, v74
	s_delay_alu instid0(VALU_DEP_3)
	v_dual_mul_f32 v74, 0x3d64c772, v72 :: v_dual_add_f32 v53, v80, v63
	v_dual_sub_f32 v63, v63, v80 :: v_dual_sub_f32 v80, v5, v9
	v_sub_f32_e32 v5, v62, v5
	v_sub_f32_e32 v9, v9, v62
	v_add_f32_e32 v62, v78, v62
	v_fmamk_f32 v72, v72, 0x3d64c772, v70
	v_mul_f32_e32 v78, 0xbf08b237, v80
	v_fma_f32 v74, 0x3f3bfb3b, v76, -v74
	v_fma_f32 v70, 0xbf3bfb3b, v76, -v70
	v_mul_f32_e32 v80, 0x3f5ff5aa, v9
	v_add_f32_e32 v72, v72, v66
	v_fmamk_f32 v76, v5, 0x3eae86e6, v78
	v_fma_f32 v78, 0x3f5ff5aa, v9, -v78
	v_sub_f32_e32 v50, v82, v75
	v_add_f32_e32 v68, v75, v82
	v_sub_f32_e32 v75, v71, v73
	s_delay_alu instid0(VALU_DEP_4)
	v_dual_sub_f32 v71, v69, v71 :: v_dual_fmac_f32 v78, 0x3ee1c552, v62
	v_sub_f32_e32 v4, v61, v4
	v_add_f32_e32 v61, v77, v61
	v_mul_f32_e32 v77, 0xbf08b237, v79
	v_dual_mul_f32 v79, 0x3f5ff5aa, v8 :: v_dual_add_f32 v70, v70, v66
	v_fmac_f32_e32 v76, 0x3ee1c552, v62
	v_add_f32_e32 v74, v74, v66
	s_delay_alu instid0(VALU_DEP_3) | instskip(NEXT) | instid1(VALU_DEP_1)
	v_fma_f32 v79, 0xbeae86e6, v4, -v79
	v_fmac_f32_e32 v79, 0x3ee1c552, v61
	v_sub_f32_e32 v73, v73, v69
	s_delay_alu instid0(VALU_DEP_2) | instskip(NEXT) | instid1(VALU_DEP_2)
	v_dual_sub_f32 v9, v70, v79 :: v_dual_add_f32 v70, v79, v70
	v_mul_f32_e32 v69, 0x3f4a47b2, v73
	v_mul_f32_e32 v73, 0x3d64c772, v71
	s_delay_alu instid0(VALU_DEP_2) | instskip(NEXT) | instid1(VALU_DEP_2)
	v_fmamk_f32 v71, v71, 0x3d64c772, v69
	v_fma_f32 v73, 0x3f3bfb3b, v75, -v73
	v_fma_f32 v69, 0xbf3bfb3b, v75, -v69
	v_fmamk_f32 v75, v4, 0x3eae86e6, v77
	v_fma_f32 v77, 0x3f5ff5aa, v8, -v77
	v_add_f32_e32 v71, v71, v65
	v_add_f32_e32 v73, v73, v65
	;; [unrolled: 1-line block ×3, first 2 shown]
	v_fmac_f32_e32 v75, 0x3ee1c552, v61
	s_delay_alu instid0(VALU_DEP_4) | instskip(NEXT) | instid1(VALU_DEP_4)
	v_dual_fmac_f32 v77, 0x3ee1c552, v61 :: v_dual_sub_f32 v238, v71, v76
	v_sub_f32_e32 v61, v73, v78
	v_add_f32_e32 v65, v78, v73
	v_and_b32_e32 v73, 0xffff, v81
	v_fma_f32 v80, 0xbeae86e6, v5, -v80
	v_sub_f32_e32 v5, v72, v75
	v_add_f32_e32 v239, v75, v72
	v_add_f32_e32 v4, v71, v76
	v_lshl_add_u32 v72, v73, 3, v151
	v_mul_u32_u24_e32 v71, 7, v235
	ds_store_2addr_b64 v72, v[2:3], v[10:11] offset1:1
	ds_store_2addr_b64 v72, v[15:16], v[17:18] offset0:2 offset1:3
	v_mov_b32_e32 v16, v151
	v_mul_u32_u24_e32 v2, 7, v234
	v_mul_u32_u24_e32 v3, 7, v94
	ds_store_2addr_b64 v72, v[19:20], v[21:22] offset0:4 offset1:5
	ds_store_b64 v72, v[23:24] offset:48
	v_lshl_add_u32 v10, v71, 3, v16
	s_clause 0x1
	scratch_store_b32 off, v72, off offset:460
	scratch_store_b32 off, v94, off offset:476
	ds_store_2addr_b64 v10, v[6:7], v[25:26] offset1:1
	ds_store_2addr_b64 v10, v[27:28], v[29:30] offset0:2 offset1:3
	v_lshl_add_u32 v6, v2, 3, v16
	v_mul_u32_u24_e32 v2, 7, v93
	v_fmac_f32_e32 v80, 0x3ee1c552, v62
	v_lshl_add_u32 v3, v3, 3, v16
	v_add_f32_e32 v62, v77, v74
	v_sub_f32_e32 v66, v74, v77
	v_lshl_add_u32 v2, v2, 3, v16
	v_dual_add_f32 v8, v80, v69 :: v_dual_sub_f32 v69, v69, v80
	ds_store_2addr_b64 v10, v[31:32], v[33:34] offset0:4 offset1:5
	ds_store_b64 v10, v[35:36] offset:48
	s_clause 0x1
	scratch_store_b32 off, v10, off offset:456
	scratch_store_b32 off, v93, off offset:472
	ds_store_2addr_b64 v6, v[37:38], v[39:40] offset1:1
	ds_store_2addr_b64 v6, v[41:42], v[43:44] offset0:2 offset1:3
	ds_store_2addr_b64 v6, v[47:48], v[51:52] offset0:4 offset1:5
	scratch_store_b32 off, v6, off offset:452 ; 4-byte Folded Spill
	ds_store_b64 v6, v[55:56] offset:48
	ds_store_2addr_b64 v3, v[45:46], v[49:50] offset1:1
	ds_store_2addr_b64 v3, v[53:54], v[57:58] offset0:2 offset1:3
	ds_store_2addr_b64 v3, v[59:60], v[63:64] offset0:4 offset1:5
	scratch_store_b32 off, v3, off offset:432 ; 4-byte Folded Spill
	ds_store_b64 v3, v[67:68] offset:48
	ds_store_2addr_b64 v2, v[0:1], v[4:5] offset1:1
	ds_store_2addr_b64 v2, v[8:9], v[61:62] offset0:2 offset1:3
	ds_store_2addr_b64 v2, v[65:66], v[69:70] offset0:4 offset1:5
	v_add_nc_u32_e32 v0, 0x400, v255
	scratch_store_b32 off, v2, off offset:428 ; 4-byte Folded Spill
	ds_store_b64 v2, v[238:239] offset:48
	s_waitcnt lgkmcnt(0)
	s_waitcnt_vscnt null, 0x0
	s_barrier
	buffer_gl0_inv
	ds_load_2addr_b64 v[32:35], v255 offset1:17
	ds_load_2addr_b64 v[192:195], v255 offset0:35 offset1:52
	ds_load_2addr_b64 v[188:191], v255 offset0:70 offset1:87
	;; [unrolled: 1-line block ×16, first 2 shown]
                                        ; implicit-def: $vgpr50
                                        ; implicit-def: $vgpr44
                                        ; implicit-def: $vgpr40
                                        ; implicit-def: $vgpr36
                                        ; implicit-def: $vgpr58
                                        ; implicit-def: $vgpr54
	s_and_saveexec_b32 s0, vcc_lo
	s_cbranch_execz .LBB0_3
; %bb.2:
	v_add_nc_u32_e32 v0, 0x400, v16
	v_add_nc_u32_e32 v1, 0x800, v16
	;; [unrolled: 1-line block ×3, first 2 shown]
	ds_load_2addr_b64 v[238:241], v16 offset0:34 offset1:69
	ds_load_2addr_b64 v[124:127], v16 offset0:104 offset1:139
	;; [unrolled: 1-line block ×8, first 2 shown]
	ds_load_b64 v[196:197], v16 offset:4752
.LBB0_3:
	s_or_b32 exec_lo, exec_lo, s0
	scratch_load_b32 v3, off, off           ; 4-byte Folded Reload
	s_waitcnt vmcnt(0)
	v_and_b32_e32 v0, 0xff, v3
	s_delay_alu instid0(VALU_DEP_1) | instskip(NEXT) | instid1(VALU_DEP_1)
	v_mul_lo_u16 v0, v0, 37
	v_lshrrev_b16 v0, 8, v0
	s_delay_alu instid0(VALU_DEP_1) | instskip(NEXT) | instid1(VALU_DEP_1)
	v_sub_nc_u16 v1, v3, v0
	v_lshrrev_b16 v1, 1, v1
	s_delay_alu instid0(VALU_DEP_1) | instskip(NEXT) | instid1(VALU_DEP_1)
	v_and_b32_e32 v1, 0x7f, v1
	v_add_nc_u16 v0, v1, v0
	v_and_b32_e32 v1, 0xff, v235
	s_delay_alu instid0(VALU_DEP_2) | instskip(NEXT) | instid1(VALU_DEP_2)
	v_lshrrev_b16 v2, 2, v0
	v_mul_lo_u16 v0, v1, 37
	s_delay_alu instid0(VALU_DEP_2) | instskip(SKIP_3) | instid1(VALU_DEP_2)
	v_mul_lo_u16 v1, v2, 7
	scratch_store_b32 off, v2, off offset:480 ; 4-byte Folded Spill
	v_lshrrev_b16 v2, 8, v0
	v_sub_nc_u16 v0, v3, v1
	v_sub_nc_u16 v1, v235, v2
	s_delay_alu instid0(VALU_DEP_2) | instskip(NEXT) | instid1(VALU_DEP_2)
	v_and_b32_e32 v0, 0xff, v0
	v_lshrrev_b16 v1, 1, v1
	s_delay_alu instid0(VALU_DEP_2)
	v_lshlrev_b32_e32 v3, 7, v0
	scratch_store_b32 off, v0, off offset:468 ; 4-byte Folded Spill
	s_clause 0x1
	global_load_b128 v[128:131], v3, s[10:11]
	global_load_b128 v[120:123], v3, s[10:11] offset:16
	s_waitcnt vmcnt(1) lgkmcnt(14)
	v_dual_mul_f32 v236, v188, v131 :: v_dual_and_b32 v1, 0x7f, v1
	s_waitcnt vmcnt(0) lgkmcnt(12)
	v_mul_f32_e32 v6, v181, v123
	s_delay_alu instid0(VALU_DEP_2)
	v_add_nc_u16 v1, v1, v2
	v_mul_f32_e32 v4, v185, v121
	v_mul_f32_e32 v237, v192, v129
	;; [unrolled: 1-line block ×4, first 2 shown]
	v_lshrrev_b16 v0, 2, v1
	v_fma_f32 v4, v184, v120, -v4
	v_fmac_f32_e32 v237, v193, v128
	v_fmac_f32_e32 v203, v181, v122
	;; [unrolled: 1-line block ×3, first 2 shown]
	scratch_store_b32 off, v0, off offset:484 ; 4-byte Folded Spill
	s_clause 0x1
	global_load_b128 v[116:119], v3, s[10:11] offset:32
	global_load_b128 v[112:115], v3, s[10:11] offset:48
	v_mul_lo_u16 v1, v0, 7
	s_clause 0x2
	global_load_b128 v[104:107], v3, s[10:11] offset:64
	global_load_b128 v[108:111], v3, s[10:11] offset:80
	;; [unrolled: 1-line block ×3, first 2 shown]
	v_fmac_f32_e32 v236, v189, v130
	v_sub_nc_u16 v1, v235, v1
	s_waitcnt vmcnt(4) lgkmcnt(10)
	s_delay_alu instid0(VALU_DEP_1) | instskip(NEXT) | instid1(VALU_DEP_1)
	v_dual_mul_f32 v8, v173, v119 :: v_dual_and_b32 v1, 0xff, v1
	v_lshlrev_b32_e32 v2, 7, v1
	s_clause 0x6
	global_load_b128 v[96:99], v3, s[10:11] offset:112
	global_load_b128 v[92:95], v2, s[10:11]
	global_load_b128 v[88:91], v2, s[10:11] offset:16
	global_load_b128 v[84:87], v2, s[10:11] offset:32
	;; [unrolled: 1-line block ×5, first 2 shown]
	s_waitcnt vmcnt(10) lgkmcnt(8)
	v_dual_mul_f32 v10, v165, v115 :: v_dual_and_b32 v3, 0xff, v234
	s_clause 0x1
	global_load_b128 v[68:71], v2, s[10:11] offset:96
	global_load_b128 v[64:67], v2, s[10:11] offset:112
	v_mul_f32_e32 v7, v177, v117
	v_mul_lo_u16 v3, v3, 37
	v_mul_f32_e32 v253, v176, v117
	v_mul_f32_e32 v251, v172, v119
	s_waitcnt vmcnt(11) lgkmcnt(7)
	v_mul_f32_e32 v248, v160, v105
	v_mul_f32_e32 v247, v164, v115
	v_lshrrev_b16 v3, 8, v3
	s_waitcnt vmcnt(10) lgkmcnt(5)
	v_mul_f32_e32 v252, v152, v109
	s_waitcnt vmcnt(9) lgkmcnt(2)
	v_dual_mul_f32 v13, v153, v109 :: v_dual_mul_f32 v224, v140, v103
	v_dual_mul_f32 v14, v149, v111 :: v_dual_mul_f32 v221, v144, v101
	v_sub_nc_u16 v2, v234, v3
	v_mul_f32_e32 v15, v145, v101
	v_dual_mul_f32 v198, v141, v103 :: v_dual_mul_f32 v249, v168, v113
	v_mul_f32_e32 v12, v157, v107
	s_delay_alu instid0(VALU_DEP_4) | instskip(SKIP_2) | instid1(VALU_DEP_3)
	v_lshrrev_b16 v2, 1, v2
	v_dual_mul_f32 v11, v161, v105 :: v_dual_mul_f32 v254, v148, v111
	v_dual_mul_f32 v9, v169, v113 :: v_dual_mul_f32 v250, v156, v107
	v_and_b32_e32 v2, 0x7f, v2
	v_fma_f32 v164, v164, v114, -v10
	s_delay_alu instid0(VALU_DEP_4) | instskip(SKIP_4) | instid1(VALU_DEP_2)
	v_fma_f32 v160, v160, v104, -v11
	v_fma_f32 v156, v156, v106, -v12
	v_fmac_f32_e32 v249, v169, v112
	v_add_nc_u16 v2, v2, v3
	v_mul_f32_e32 v3, v189, v131
	v_lshrrev_b16 v2, 2, v2
	s_delay_alu instid0(VALU_DEP_1) | instskip(NEXT) | instid1(VALU_DEP_1)
	v_mul_lo_u16 v2, v2, 7
	v_sub_nc_u16 v0, v234, v2
	s_delay_alu instid0(VALU_DEP_1) | instskip(SKIP_2) | instid1(VALU_DEP_1)
	v_lshlrev_b16 v2, 4, v0
	scratch_store_b32 off, v0, off offset:296 ; 4-byte Folded Spill
	v_and_b32_e32 v2, 0xf0, v2
	v_lshlrev_b32_e32 v2, 3, v2
	s_clause 0x7
	global_load_b128 v[60:63], v2, s[10:11]
	global_load_b128 v[215:218], v2, s[10:11] offset:16
	global_load_b128 v[230:233], v2, s[10:11] offset:32
	;; [unrolled: 1-line block ×7, first 2 shown]
	v_mul_f32_e32 v2, v193, v129
	scratch_store_b128 off, v[128:131], off offset:436 ; 16-byte Folded Spill
	v_fma_f32 v5, v192, v128, -v2
	s_waitcnt vmcnt(15) lgkmcnt(1)
	v_dual_mul_f32 v199, v137, v97 :: v_dual_mul_f32 v202, v191, v95
	s_waitcnt lgkmcnt(0)
	v_dual_mul_f32 v200, v133, v99 :: v_dual_mul_f32 v201, v195, v93
	v_mul_f32_e32 v246, v194, v93
	s_waitcnt vmcnt(14)
	v_dual_mul_f32 v245, v190, v95 :: v_dual_mul_f32 v208, v187, v89
	s_waitcnt vmcnt(13)
	v_dual_mul_f32 v244, v186, v89 :: v_dual_mul_f32 v211, v175, v87
	v_mul_f32_e32 v209, v183, v91
	v_dual_mul_f32 v243, v182, v91 :: v_dual_mul_f32 v210, v179, v85
	v_fma_f32 v194, v194, v92, -v201
	s_waitcnt vmcnt(12)
	v_dual_fmac_f32 v246, v195, v92 :: v_dual_mul_f32 v193, v170, v81
	v_dual_mul_f32 v192, v166, v83 :: v_dual_fmac_f32 v245, v191, v94
	v_fma_f32 v190, v190, v94, -v202
	s_clause 0x1
	scratch_store_b128 off, v[92:95], off offset:412
	scratch_store_b128 off, v[88:91], off offset:396
	v_mov_b32_e32 v92, v100
	v_dual_mul_f32 v212, v171, v81 :: v_dual_mov_b32 v93, v101
	v_dual_mov_b32 v94, v102 :: v_dual_mov_b32 v95, v103
	v_mov_b32_e32 v100, v108
	s_waitcnt vmcnt(11)
	v_dual_mul_f32 v0, v174, v87 :: v_dual_mul_f32 v201, v163, v77
	v_dual_mul_f32 v2, v167, v83 :: v_dual_mov_b32 v101, v109
	v_fma_f32 v195, v188, v130, -v3
	v_dual_mov_b32 v102, v110 :: v_dual_mul_f32 v3, v159, v79
	v_dual_mov_b32 v103, v111 :: v_dual_mov_b32 v108, v116
	v_mul_f32_e32 v189, v158, v79
	v_mul_f32_e32 v188, v162, v77
	v_fma_f32 v186, v186, v88, -v208
	v_fmac_f32_e32 v244, v187, v88
	s_waitcnt vmcnt(10)
	v_dual_mul_f32 v184, v154, v73 :: v_dual_fmac_f32 v243, v183, v90
	s_waitcnt vmcnt(9)
	v_mul_f32_e32 v213, v147, v69
	v_fma_f32 v191, v180, v122, -v6
	v_fma_f32 v180, v182, v90, -v209
	v_mov_b32_e32 v88, v96
	v_mul_f32_e32 v223, v136, v97
	v_mul_f32_e32 v222, v132, v99
	;; [unrolled: 1-line block ×3, first 2 shown]
	v_mov_b32_e32 v110, v118
	v_dual_mov_b32 v90, v98 :: v_dual_mov_b32 v91, v99
	v_mov_b32_e32 v109, v117
	v_mov_b32_e32 v111, v119
	v_dual_mul_f32 v202, v155, v73 :: v_dual_mul_f32 v185, v150, v75
	v_dual_mul_f32 v208, v151, v75 :: v_dual_mul_f32 v181, v146, v69
	v_fma_f32 v187, v176, v108, -v7
	v_fma_f32 v176, v178, v84, -v210
	s_waitcnt vmcnt(8)
	v_mul_f32_e32 v210, v135, v67
	v_dual_fmac_f32 v252, v153, v100 :: v_dual_fmac_f32 v189, v159, v78
	v_dual_fmac_f32 v224, v141, v94 :: v_dual_fmac_f32 v181, v147, v68
	v_fma_f32 v141, v162, v76, -v201
	v_fmac_f32_e32 v188, v163, v76
	v_fma_f32 v169, v158, v78, -v3
	s_clause 0x1
	scratch_store_b128 off, v[76:79], off offset:348
	scratch_store_b128 off, v[72:75], off offset:332
	v_dual_mov_b32 v76, v238 :: v_dual_fmac_f32 v185, v151, v74
	v_dual_mul_f32 v182, v142, v71 :: v_dual_fmac_f32 v253, v177, v108
	v_dual_mul_f32 v214, v139, v65 :: v_dual_fmac_f32 v251, v173, v110
	v_dual_fmac_f32 v242, v179, v84 :: v_dual_mul_f32 v177, v138, v65
	v_dual_mul_f32 v178, v134, v67 :: v_dual_fmac_f32 v247, v165, v114
	v_fma_f32 v183, v172, v110, -v8
	v_fma_f32 v179, v168, v112, -v9
	;; [unrolled: 1-line block ×3, first 2 shown]
	v_dual_fmac_f32 v223, v137, v88 :: v_dual_fmac_f32 v192, v167, v82
	v_fma_f32 v6, v132, v90, -v200
	v_dual_fmac_f32 v222, v133, v90 :: v_dual_fmac_f32 v177, v139, v64
	v_fma_f32 v168, v170, v80, -v212
	s_waitcnt vmcnt(6)
	v_dual_mov_b32 v78, v240 :: v_dual_mul_f32 v9, v127, v216
	v_mul_f32_e32 v8, v125, v63
	s_waitcnt vmcnt(4)
	v_dual_mul_f32 v212, v54, v231 :: v_dual_mul_f32 v13, v59, v22
	s_waitcnt vmcnt(2)
	v_dual_mul_f32 v30, v50, v18 :: v_dual_mul_f32 v219, v40, v229
	v_dual_mul_f32 v209, v143, v71 :: v_dual_fmac_f32 v248, v161, v104
	v_dual_fmac_f32 v221, v145, v92 :: v_dual_fmac_f32 v0, v175, v86
	v_fma_f32 v7, v136, v88, -v199
	v_fma_f32 v172, v174, v86, -v211
	s_clause 0x1
	scratch_store_b128 off, v[68:71], off offset:316
	scratch_store_b128 off, v[64:67], off offset:300
	v_fma_f32 v175, v138, v64, -v214
	v_dual_fmac_f32 v178, v135, v66 :: v_dual_mul_f32 v29, v48, v24
	v_dual_mul_f32 v10, v53, v218 :: v_dual_mul_f32 v31, v44, v20
	s_waitcnt vmcnt(1)
	v_dual_mul_f32 v211, v52, v218 :: v_dual_mul_f32 v136, v37, v207
	s_waitcnt vmcnt(0)
	v_mul_f32_e32 v3, v38, v26
	v_fma_f32 v64, v124, v62, -v8
	v_fma_f32 v65, v126, v215, -v9
	;; [unrolled: 1-line block ×3, first 2 shown]
	v_dual_fmac_f32 v30, v51, v17 :: v_dual_sub_f32 v9, v237, v222
	v_dual_add_f32 v8, v5, v6 :: v_dual_sub_f32 v13, v236, v223
	v_dual_fmac_f32 v250, v157, v106 :: v_dual_fmac_f32 v193, v171, v80
	v_fma_f32 v148, v148, v102, -v14
	v_fma_f32 v144, v144, v92, -v15
	;; [unrolled: 1-line block ×4, first 2 shown]
	v_fmac_f32_e32 v184, v155, v72
	v_fma_f32 v171, v150, v74, -v208
	v_fma_f32 v173, v146, v68, -v213
	;; [unrolled: 1-line block ×3, first 2 shown]
	v_dual_mul_f32 v209, v124, v63 :: v_dual_fmac_f32 v182, v143, v70
	v_mul_f32_e32 v213, v56, v233
	v_fma_f32 v166, v134, v66, -v210
	v_dual_mul_f32 v210, v126, v216 :: v_dual_mul_f32 v11, v55, v231
	v_dual_mul_f32 v12, v57, v233 :: v_dual_mul_f32 v15, v51, v18
	v_dual_mul_f32 v214, v58, v22 :: v_dual_mul_f32 v133, v47, v227
	v_mul_f32_e32 v14, v49, v24
	v_dual_mul_f32 v132, v45, v20 :: v_dual_mul_f32 v135, v43, v205
	v_dual_mul_f32 v134, v41, v229 :: v_dual_mul_f32 v137, v39, v26
	v_dual_mul_f32 v220, v42, v205 :: v_dual_fmac_f32 v209, v125, v62
	v_dual_mul_f32 v208, v36, v207 :: v_dual_fmac_f32 v211, v53, v217
	v_dual_mul_f32 v2, v196, v28 :: v_dual_fmac_f32 v29, v49, v23
	v_fma_f32 v66, v52, v217, -v10
	scratch_store_b128 off, v[17:20], off offset:488 ; 16-byte Folded Spill
	v_fma_f32 v18, v36, v206, -v136
	v_sub_f32_e32 v10, v5, v6
	v_dual_mul_f32 v36, 0xbf2c7751, v9 :: v_dual_add_f32 v151, v236, v223
	v_dual_mul_f32 v49, 0xbf7ee86f, v13 :: v_dual_sub_f32 v150, v195, v7
	v_dual_fmac_f32 v254, v149, v102 :: v_dual_mov_b32 v77, v239
	v_mov_b32_e32 v79, v241
	v_mul_f32_e32 v239, v46, v227
	v_dual_fmac_f32 v210, v127, v215 :: v_dual_fmac_f32 v213, v57, v232
	v_fma_f32 v67, v54, v230, -v11
	v_dual_fmac_f32 v212, v55, v230 :: v_dual_fmac_f32 v31, v45, v19
	v_fma_f32 v68, v56, v232, -v12
	s_clause 0x1
	scratch_store_b128 off, v[230:233], off offset:536
	scratch_store_b128 off, v[204:207], off offset:552
	v_dual_fmac_f32 v214, v59, v21 :: v_dual_fmac_f32 v219, v41, v228
	v_fma_f32 v70, v48, v23, -v14
	s_clause 0x1
	scratch_store_b128 off, v[21:24], off offset:504
	scratch_store_b128 off, v[226:229], off offset:520
	v_fma_f32 v21, v50, v17, -v15
	v_fma_f32 v230, v44, v19, -v132
	;; [unrolled: 1-line block ×5, first 2 shown]
	v_dual_fmac_f32 v220, v43, v204 :: v_dual_add_f32 v11, v237, v222
	v_fma_f32 v231, v38, v25, -v137
	v_mul_f32_e32 v38, 0xbf65296c, v9
	v_mul_f32_e32 v40, 0xbf7ee86f, v9
	;; [unrolled: 1-line block ×5, first 2 shown]
	v_dual_mul_f32 v48, 0xbf2c7751, v13 :: v_dual_mul_f32 v153, 0xbf2c7751, v150
	v_fma_f32 v57, 0x3f3d2fb0, v8, -v36
	v_dual_fmac_f32 v36, 0x3f3d2fb0, v8 :: v_dual_add_f32 v5, v32, v5
	v_mul_f32_e32 v14, 0xbeb8f4ab, v9
	v_dual_mul_f32 v9, 0xbe3c28d5, v9 :: v_dual_fmac_f32 v2, v197, v27
	v_mul_f32_e32 v15, 0xbeb8f4ab, v10
	v_dual_fmac_f32 v208, v37, v206 :: v_dual_fmac_f32 v3, v39, v25
	v_dual_add_f32 v12, v195, v7 :: v_dual_mul_f32 v37, 0xbf2c7751, v10
	v_mul_f32_e32 v39, 0xbf65296c, v10
	v_fmamk_f32 v162, v151, 0x3f3d2fb0, v153
	v_fmamk_f32 v56, v11, 0x3f6eb680, v15
	v_fma_f32 v15, 0x3f6eb680, v11, -v15
	v_fma_f32 v170, v154, v72, -v202
	v_dual_mul_f32 v138, v197, v28 :: v_dual_fmac_f32 v239, v47, v226
	v_mul_f32_e32 v41, 0xbf7ee86f, v10
	v_mul_f32_e32 v43, 0xbf763a35, v10
	;; [unrolled: 1-line block ×4, first 2 shown]
	v_dual_mul_f32 v10, 0xbe3c28d5, v10 :: v_dual_mul_f32 v51, 0xbe3c28d5, v13
	v_dual_mul_f32 v50, 0xbf4c4adb, v13 :: v_dual_mul_f32 v155, 0xbf4c4adb, v150
	v_mul_f32_e32 v53, 0x3f763a35, v13
	v_fmamk_f32 v58, v11, 0x3f3d2fb0, v37
	v_fma_f32 v37, 0x3f3d2fb0, v11, -v37
	v_add_f32_e32 v5, v5, v195
	v_fma_f32 v55, 0x3f6eb680, v8, -v14
	v_dual_fmac_f32 v14, 0x3f6eb680, v8 :: v_dual_add_f32 v15, v33, v15
	v_mul_f32_e32 v154, 0xbf7ee86f, v150
	v_fma_f32 v153, 0x3f3d2fb0, v151, -v153
	v_fmamk_f32 v124, v11, 0x3ee437d1, v39
	v_fma_f32 v39, 0x3ee437d1, v11, -v39
	v_fma_f32 v229, v196, v27, -v138
	v_dual_mul_f32 v52, 0x3f06c442, v13 :: v_dual_add_f32 v55, v32, v55
	v_dual_mul_f32 v54, 0x3f65296c, v13 :: v_dual_mul_f32 v161, 0x3f65296c, v150
	v_fma_f32 v59, 0x3ee437d1, v8, -v38
	v_fmac_f32_e32 v38, 0x3ee437d1, v8
	v_fma_f32 v125, 0x3dbcf732, v8, -v40
	v_dual_fmamk_f32 v126, v11, 0x3dbcf732, v41 :: v_dual_add_f32 v37, v33, v37
	v_fma_f32 v127, 0xbe8c1d8e, v8, -v42
	v_fma_f32 v133, 0xbf1a4643, v8, -v44
	v_dual_fmamk_f32 v134, v11, 0xbf1a4643, v45 :: v_dual_add_f32 v39, v33, v39
	v_dual_fmac_f32 v44, 0xbf1a4643, v8 :: v_dual_fmamk_f32 v165, v151, 0xbf1a4643, v155
	v_fma_f32 v135, 0xbf59a7d5, v8, -v46
	v_fma_f32 v137, 0xbf7ba420, v8, -v9
	v_dual_fmamk_f32 v138, v11, 0xbf7ba420, v10 :: v_dual_fmac_f32 v9, 0xbf7ba420, v8
	v_fma_f32 v139, 0xbf1a4643, v12, -v50
	v_fmac_f32_e32 v42, 0xbe8c1d8e, v8
	v_fma_f32 v146, 0xbe8c1d8e, v12, -v53
	v_dual_fmac_f32 v53, 0xbe8c1d8e, v12 :: v_dual_add_f32 v14, v32, v14
	v_mul_f32_e32 v157, 0xbe3c28d5, v150
	v_fmamk_f32 v163, v151, 0x3dbcf732, v154
	v_fma_f32 v154, 0x3dbcf732, v151, -v154
	v_fmac_f32_e32 v40, 0x3dbcf732, v8
	v_fma_f32 v155, 0xbf1a4643, v151, -v155
	v_fmac_f32_e32 v46, 0xbf59a7d5, v8
	v_fma_f32 v8, 0xbf7ba420, v11, -v10
	v_fma_f32 v10, 0x3f3d2fb0, v12, -v48
	;; [unrolled: 1-line block ×3, first 2 shown]
	v_add_f32_e32 v39, v155, v39
	v_fmac_f32_e32 v51, 0xbf7ba420, v12
	v_fma_f32 v41, 0x3dbcf732, v11, -v41
	v_dual_add_f32 v10, v10, v55 :: v_dual_add_f32 v55, v33, v56
	v_fmamk_f32 v167, v151, 0xbf7ba420, v157
	v_fmac_f32_e32 v48, 0x3f3d2fb0, v12
	v_fmamk_f32 v132, v11, 0xbe8c1d8e, v43
	v_fma_f32 v43, 0xbe8c1d8e, v11, -v43
	v_fma_f32 v45, 0xbf1a4643, v11, -v45
	v_fmamk_f32 v136, v11, 0xbf59a7d5, v47
	v_fma_f32 v47, 0xbf59a7d5, v11, -v47
	v_fma_f32 v11, 0x3dbcf732, v12, -v49
	v_add_f32_e32 v14, v48, v14
	v_dual_add_f32 v48, v32, v57 :: v_dual_add_f32 v57, v33, v126
	v_mul_f32_e32 v13, 0x3eb8f4ab, v13
	v_dual_fmac_f32 v50, 0xbf1a4643, v12 :: v_dual_add_f32 v41, v33, v41
	s_delay_alu instid0(VALU_DEP_3) | instskip(SKIP_3) | instid1(VALU_DEP_4)
	v_dual_add_f32 v11, v11, v48 :: v_dual_add_f32 v48, v33, v58
	v_mul_f32_e32 v159, 0x3f763a35, v150
	v_fmamk_f32 v197, v151, 0x3ee437d1, v161
	v_dual_add_f32 v37, v154, v37 :: v_dual_add_f32 v38, v32, v38
	v_dual_add_f32 v43, v33, v43 :: v_dual_add_f32 v48, v163, v48
	s_delay_alu instid0(VALU_DEP_4)
	v_dual_fmamk_f32 v196, v151, 0xbe8c1d8e, v159 :: v_dual_add_f32 v5, v5, v4
	v_add_f32_e32 v40, v32, v40
	v_fmac_f32_e32 v49, 0x3dbcf732, v12
	v_fma_f32 v143, 0xbf59a7d5, v12, -v52
	v_fma_f32 v147, 0x3ee437d1, v12, -v54
	v_fmac_f32_e32 v54, 0x3ee437d1, v12
	v_fma_f32 v157, 0xbf7ba420, v151, -v157
	v_fmac_f32_e32 v52, 0xbf59a7d5, v12
	v_dual_add_f32 v40, v51, v40 :: v_dual_add_f32 v51, v32, v127
	v_mul_f32_e32 v158, 0x3f06c442, v150
	v_mul_f32_e32 v150, 0x3eb8f4ab, v150
	v_fma_f32 v149, 0x3f6eb680, v12, -v13
	v_dual_fmac_f32 v13, 0x3f6eb680, v12 :: v_dual_add_f32 v12, v33, v237
	s_delay_alu instid0(VALU_DEP_3) | instskip(SKIP_3) | instid1(VALU_DEP_2)
	v_dual_mul_f32 v237, v78, v61 :: v_dual_fmamk_f32 v198, v151, 0x3f6eb680, v150
	v_add_f32_e32 v38, v50, v38
	v_dual_add_f32 v50, v32, v125 :: v_dual_add_f32 v5, v5, v191
	v_dual_add_f32 v36, v32, v36 :: v_dual_add_f32 v51, v143, v51
	v_dual_fmamk_f32 v195, v151, 0xbf59a7d5, v158 :: v_dual_add_f32 v50, v142, v50
	s_delay_alu instid0(VALU_DEP_3) | instskip(NEXT) | instid1(VALU_DEP_3)
	v_dual_add_f32 v5, v5, v187 :: v_dual_add_f32 v12, v12, v236
	v_dual_add_f32 v36, v49, v36 :: v_dual_add_f32 v49, v32, v59
	v_mul_f32_e32 v59, v79, v61
	s_delay_alu instid0(VALU_DEP_3) | instskip(SKIP_3) | instid1(VALU_DEP_4)
	v_add_f32_e32 v5, v5, v183
	v_fma_f32 v158, 0xbf59a7d5, v151, -v158
	v_add_f32_e32 v15, v153, v15
	v_dual_add_f32 v49, v139, v49 :: v_dual_add_f32 v56, v33, v124
	v_dual_add_f32 v42, v32, v42 :: v_dual_add_f32 v5, v5, v179
	v_add_f32_e32 v125, v33, v134
	v_add_f32_e32 v58, v33, v132
	v_sub_f32_e32 v126, v225, v224
	v_add_f32_e32 v130, v32, v135
	v_add_f32_e32 v135, v32, v137
	;; [unrolled: 1-line block ×3, first 2 shown]
	v_fma_f32 v159, 0xbe8c1d8e, v151, -v159
	v_mul_f32_e32 v127, 0xbf65296c, v126
	v_add_f32_e32 v41, v157, v41
	v_fma_f32 v236, v78, v60, -v59
	v_dual_add_f32 v43, v158, v43 :: v_dual_add_f32 v56, v165, v56
	v_add_f32_e32 v59, v4, v145
	v_sub_f32_e32 v4, v4, v145
	v_add_f32_e32 v42, v52, v42
	v_dual_add_f32 v52, v32, v133 :: v_dual_add_f32 v5, v5, v164
	v_dual_add_f32 v125, v196, v125 :: v_dual_add_f32 v58, v195, v58
	;; [unrolled: 1-line block ×3, first 2 shown]
	s_delay_alu instid0(VALU_DEP_3) | instskip(SKIP_1) | instid1(VALU_DEP_3)
	v_add_f32_e32 v5, v5, v160
	v_dual_add_f32 v44, v32, v44 :: v_dual_add_f32 v47, v33, v47
	v_add_f32_e32 v45, v159, v45
	s_delay_alu instid0(VALU_DEP_3) | instskip(SKIP_1) | instid1(VALU_DEP_4)
	v_dual_add_f32 v12, v12, v253 :: v_dual_add_f32 v5, v5, v156
	v_add_f32_e32 v124, v225, v224
	v_dual_add_f32 v44, v53, v44 :: v_dual_add_f32 v9, v32, v9
	s_delay_alu instid0(VALU_DEP_3) | instskip(SKIP_3) | instid1(VALU_DEP_4)
	v_dual_add_f32 v12, v12, v251 :: v_dual_add_f32 v5, v5, v152
	v_mul_f32_e32 v53, 0xbf65296c, v4
	v_fma_f32 v161, 0x3ee437d1, v151, -v161
	v_fma_f32 v133, 0x3ee437d1, v59, -v127
	v_dual_add_f32 v12, v12, v249 :: v_dual_add_f32 v5, v5, v148
	v_fmac_f32_e32 v127, 0x3ee437d1, v59
	v_dual_add_f32 v57, v167, v57 :: v_dual_add_f32 v132, v33, v136
	s_delay_alu instid0(VALU_DEP_3) | instskip(SKIP_2) | instid1(VALU_DEP_3)
	v_dual_add_f32 v12, v12, v247 :: v_dual_add_f32 v5, v5, v144
	v_add_f32_e32 v8, v33, v8
	v_dual_add_f32 v52, v146, v52 :: v_dual_mul_f32 v131, 0xbf4c4adb, v126
	v_dual_add_f32 v12, v12, v248 :: v_dual_add_f32 v5, v5, v145
	v_dual_fmamk_f32 v134, v124, 0x3ee437d1, v53 :: v_dual_add_f32 v9, v13, v9
	v_fma_f32 v53, 0x3ee437d1, v124, -v53
	s_delay_alu instid0(VALU_DEP_3) | instskip(SKIP_2) | instid1(VALU_DEP_3)
	v_dual_add_f32 v46, v32, v46 :: v_dual_add_f32 v5, v5, v7
	v_fma_f32 v150, 0x3f6eb680, v151, -v150
	v_add_f32_e32 v55, v162, v55
	v_dual_add_f32 v13, v53, v15 :: v_dual_add_f32 v32, v54, v46
	s_delay_alu instid0(VALU_DEP_4)
	v_dual_mul_f32 v53, 0x3e3c28d5, v4 :: v_dual_add_f32 v154, v5, v6
	v_mul_f32_e32 v6, 0xbf4c4adb, v4
	v_add_f32_e32 v136, v33, v138
	v_dual_add_f32 v33, v161, v47 :: v_dual_add_f32 v12, v12, v250
	v_fma_f32 v5, 0xbf1a4643, v59, -v131
	v_fmac_f32_e32 v131, 0xbf1a4643, v59
	v_dual_fmac_f32 v237, v79, v60 :: v_dual_add_f32 v10, v133, v10
	s_delay_alu instid0(VALU_DEP_3) | instskip(SKIP_2) | instid1(VALU_DEP_3)
	v_dual_add_f32 v12, v12, v252 :: v_dual_add_f32 v5, v5, v11
	v_dual_fmamk_f32 v11, v124, 0xbf1a4643, v6 :: v_dual_add_f32 v46, v149, v135
	v_fma_f32 v6, 0xbf1a4643, v124, -v6
	v_add_f32_e32 v12, v12, v254
	v_dual_add_f32 v130, v147, v130 :: v_dual_add_f32 v47, v198, v136
	s_delay_alu instid0(VALU_DEP_4) | instskip(NEXT) | instid1(VALU_DEP_3)
	v_dual_add_f32 v11, v11, v48 :: v_dual_mul_f32 v48, 0x3f763a35, v126
	v_add_f32_e32 v12, v12, v221
	v_dual_add_f32 v6, v6, v37 :: v_dual_fmamk_f32 v37, v124, 0xbf7ba420, v53
	v_mov_b32_e32 v89, v97
	s_delay_alu instid0(VALU_DEP_4) | instskip(NEXT) | instid1(VALU_DEP_4)
	v_fma_f32 v54, 0xbe8c1d8e, v59, -v48
	v_add_f32_e32 v12, v12, v224
	v_add_f32_e32 v241, v210, v208
	;; [unrolled: 1-line block ×3, first 2 shown]
	v_dual_mul_f32 v56, 0xbeb8f4ab, v4 :: v_dual_sub_f32 v225, v65, v18
	s_delay_alu instid0(VALU_DEP_4) | instskip(SKIP_2) | instid1(VALU_DEP_3)
	v_dual_add_f32 v7, v12, v223 :: v_dual_add_f32 v132, v197, v132
	v_dual_add_f32 v12, v134, v55 :: v_dual_mul_f32 v55, 0x3f2c7751, v4
	v_sub_f32_e32 v223, v210, v208
	v_add_f32_e32 v155, v7, v222
	v_add_f32_e32 v7, v127, v14
	v_mul_f32_e32 v14, 0x3e3c28d5, v126
	s_clause 0x3
	scratch_store_b128 off, v[84:87], off offset:380
	scratch_store_b128 off, v[80:83], off offset:364
	;; [unrolled: 1-line block ×4, first 2 shown]
	v_fma_f32 v15, 0xbf7ba420, v59, -v14
	v_fmac_f32_e32 v14, 0xbf7ba420, v59
	scratch_store_b128 off, v[60:63], off offset:600 ; 16-byte Folded Spill
	v_add_f32_e32 v222, v211, v220
	v_dual_add_f32 v224, v65, v18 :: v_dual_add_f32 v15, v15, v49
	v_fma_f32 v49, 0xbf7ba420, v124, -v53
	v_add_f32_e32 v8, v150, v8
	v_dual_add_f32 v14, v14, v38 :: v_dual_mul_f32 v53, 0x3f763a35, v4
	s_delay_alu instid0(VALU_DEP_3) | instskip(NEXT) | instid1(VALU_DEP_2)
	v_dual_add_f32 v38, v49, v39 :: v_dual_mul_f32 v49, 0x3f2c7751, v126
	v_dual_add_f32 v50, v54, v50 :: v_dual_fmamk_f32 v39, v124, 0xbe8c1d8e, v53
	v_fma_f32 v53, 0xbe8c1d8e, v124, -v53
	s_delay_alu instid0(VALU_DEP_3) | instskip(SKIP_1) | instid1(VALU_DEP_4)
	v_fma_f32 v54, 0x3f3d2fb0, v59, -v49
	v_dual_fmac_f32 v49, 0x3f3d2fb0, v59 :: v_dual_add_f32 v36, v131, v36
	v_add_f32_e32 v39, v39, v57
	s_delay_alu instid0(VALU_DEP_4) | instskip(NEXT) | instid1(VALU_DEP_4)
	v_add_f32_e32 v41, v53, v41
	v_add_f32_e32 v51, v54, v51
	v_fma_f32 v54, 0x3f3d2fb0, v124, -v55
	v_dual_fmamk_f32 v53, v124, 0x3f3d2fb0, v55 :: v_dual_add_f32 v42, v49, v42
	s_delay_alu instid0(VALU_DEP_2) | instskip(SKIP_2) | instid1(VALU_DEP_4)
	v_add_f32_e32 v43, v54, v43
	v_fmac_f32_e32 v48, 0xbe8c1d8e, v59
	v_mul_f32_e32 v54, 0xbf7ee86f, v126
	v_add_f32_e32 v53, v53, v58
	s_delay_alu instid0(VALU_DEP_2) | instskip(NEXT) | instid1(VALU_DEP_4)
	v_fma_f32 v57, 0x3dbcf732, v59, -v54
	v_add_f32_e32 v40, v48, v40
	v_mul_f32_e32 v48, 0xbeb8f4ab, v126
	s_delay_alu instid0(VALU_DEP_3) | instskip(NEXT) | instid1(VALU_DEP_2)
	v_add_f32_e32 v57, v57, v130
	v_fma_f32 v55, 0x3f6eb680, v59, -v48
	s_delay_alu instid0(VALU_DEP_1) | instskip(SKIP_1) | instid1(VALU_DEP_2)
	v_dual_fmac_f32 v48, 0x3f6eb680, v59 :: v_dual_add_f32 v49, v55, v52
	v_mul_f32_e32 v55, 0xbf7ee86f, v4
	v_add_f32_e32 v44, v48, v44
	v_mul_f32_e32 v4, 0xbf06c442, v4
	s_delay_alu instid0(VALU_DEP_3) | instskip(SKIP_1) | instid1(VALU_DEP_1)
	v_fmamk_f32 v48, v124, 0x3dbcf732, v55
	v_fma_f32 v55, 0x3dbcf732, v124, -v55
	v_add_f32_e32 v33, v55, v33
	s_delay_alu instid0(VALU_DEP_4) | instskip(SKIP_3) | instid1(VALU_DEP_2)
	v_fmamk_f32 v55, v124, 0xbf59a7d5, v4
	v_fmamk_f32 v52, v124, 0x3f6eb680, v56
	v_fma_f32 v56, 0x3f6eb680, v124, -v56
	v_fma_f32 v4, 0xbf59a7d5, v124, -v4
	v_dual_add_f32 v45, v56, v45 :: v_dual_mul_f32 v56, 0xbf06c442, v126
	s_delay_alu instid0(VALU_DEP_1) | instskip(SKIP_1) | instid1(VALU_DEP_2)
	v_fma_f32 v58, 0xbf59a7d5, v59, -v56
	v_fmac_f32_e32 v56, 0xbf59a7d5, v59
	v_add_f32_e32 v46, v58, v46
	s_delay_alu instid0(VALU_DEP_2) | instskip(SKIP_4) | instid1(VALU_DEP_4)
	v_dual_add_f32 v58, v191, v144 :: v_dual_add_f32 v9, v56, v9
	v_fmac_f32_e32 v54, 0x3dbcf732, v59
	v_sub_f32_e32 v126, v191, v144
	v_add_f32_e32 v47, v55, v47
	v_dual_add_f32 v59, v203, v221 :: v_dual_add_f32 v4, v4, v8
	v_add_f32_e32 v32, v54, v32
	v_sub_f32_e32 v54, v203, v221
	v_dual_add_f32 v52, v52, v125 :: v_dual_mul_f32 v127, 0xbf7ee86f, v126
	v_sub_f32_e32 v221, v66, v17
	s_delay_alu instid0(VALU_DEP_3) | instskip(SKIP_1) | instid1(VALU_DEP_4)
	v_mul_f32_e32 v125, 0xbf7ee86f, v54
	v_mul_f32_e32 v55, 0xbe3c28d5, v54
	v_fma_f32 v56, 0x3dbcf732, v59, -v127
	s_delay_alu instid0(VALU_DEP_3) | instskip(SKIP_1) | instid1(VALU_DEP_3)
	v_fma_f32 v124, 0x3dbcf732, v58, -v125
	v_fmac_f32_e32 v125, 0x3dbcf732, v58
	v_add_f32_e32 v13, v56, v13
	s_delay_alu instid0(VALU_DEP_3) | instskip(SKIP_1) | instid1(VALU_DEP_4)
	v_add_f32_e32 v8, v124, v10
	v_fmamk_f32 v10, v59, 0x3dbcf732, v127
	v_dual_mul_f32 v124, 0xbe3c28d5, v126 :: v_dual_add_f32 v7, v125, v7
	v_add_f32_e32 v48, v48, v132
	s_delay_alu instid0(VALU_DEP_3) | instskip(SKIP_1) | instid1(VALU_DEP_4)
	v_add_f32_e32 v10, v10, v12
	v_fma_f32 v12, 0xbf7ba420, v58, -v55
	v_dual_fmamk_f32 v56, v59, 0xbf7ba420, v124 :: v_dual_fmac_f32 v55, 0xbf7ba420, v58
	v_mul_f32_e32 v125, 0x3f763a35, v54
	s_delay_alu instid0(VALU_DEP_3) | instskip(SKIP_1) | instid1(VALU_DEP_4)
	v_add_f32_e32 v5, v12, v5
	v_fma_f32 v12, 0xbf7ba420, v59, -v124
	v_add_f32_e32 v11, v56, v11
	s_delay_alu instid0(VALU_DEP_4) | instskip(SKIP_3) | instid1(VALU_DEP_3)
	v_fma_f32 v56, 0xbe8c1d8e, v58, -v125
	v_fmac_f32_e32 v125, 0xbe8c1d8e, v58
	v_mul_f32_e32 v124, 0x3f763a35, v126
	v_dual_add_f32 v36, v55, v36 :: v_dual_mul_f32 v127, 0x3eb8f4ab, v126
	v_dual_add_f32 v15, v56, v15 :: v_dual_add_f32 v14, v125, v14
	s_delay_alu instid0(VALU_DEP_3) | instskip(SKIP_2) | instid1(VALU_DEP_3)
	v_fmamk_f32 v55, v59, 0xbe8c1d8e, v124
	v_fma_f32 v56, 0xbe8c1d8e, v59, -v124
	v_mul_f32_e32 v125, 0xbf65296c, v126
	v_dual_add_f32 v6, v12, v6 :: v_dual_add_f32 v37, v55, v37
	s_delay_alu instid0(VALU_DEP_3) | instskip(NEXT) | instid1(VALU_DEP_1)
	v_dual_add_f32 v38, v56, v38 :: v_dual_fmamk_f32 v55, v59, 0x3f6eb680, v127
	v_dual_mul_f32 v56, 0xbf65296c, v54 :: v_dual_add_f32 v39, v55, v39
	s_delay_alu instid0(VALU_DEP_1) | instskip(NEXT) | instid1(VALU_DEP_1)
	v_fma_f32 v55, 0x3ee437d1, v58, -v56
	v_add_f32_e32 v51, v55, v51
	v_fma_f32 v55, 0x3ee437d1, v59, -v125
	s_delay_alu instid0(VALU_DEP_1) | instskip(NEXT) | instid1(VALU_DEP_1)
	v_dual_mul_f32 v12, 0x3eb8f4ab, v54 :: v_dual_add_f32 v43, v55, v43
	v_fma_f32 v124, 0x3f6eb680, v58, -v12
	v_fmac_f32_e32 v12, 0x3f6eb680, v58
	v_mul_f32_e32 v55, 0x3f4c4adb, v54
	s_delay_alu instid0(VALU_DEP_3) | instskip(SKIP_1) | instid1(VALU_DEP_4)
	v_add_f32_e32 v50, v124, v50
	v_fma_f32 v124, 0x3f6eb680, v59, -v127
	v_add_f32_e32 v12, v12, v40
	s_delay_alu instid0(VALU_DEP_2) | instskip(SKIP_2) | instid1(VALU_DEP_3)
	v_dual_add_f32 v40, v124, v41 :: v_dual_fmamk_f32 v41, v59, 0x3ee437d1, v125
	v_mul_f32_e32 v124, 0xbf06c442, v54
	v_mul_f32_e32 v125, 0xbf06c442, v126
	v_dual_mul_f32 v54, 0x3f2c7751, v54 :: v_dual_add_f32 v41, v41, v53
	s_delay_alu instid0(VALU_DEP_3) | instskip(NEXT) | instid1(VALU_DEP_1)
	v_fma_f32 v53, 0xbf59a7d5, v58, -v124
	v_dual_fmac_f32 v124, 0xbf59a7d5, v58 :: v_dual_add_f32 v49, v53, v49
	s_delay_alu instid0(VALU_DEP_4) | instskip(NEXT) | instid1(VALU_DEP_2)
	v_fmamk_f32 v53, v59, 0xbf59a7d5, v125
	v_dual_mul_f32 v127, 0x3f4c4adb, v126 :: v_dual_add_f32 v44, v124, v44
	s_delay_alu instid0(VALU_DEP_2) | instskip(NEXT) | instid1(VALU_DEP_2)
	v_add_f32_e32 v52, v53, v52
	v_fma_f32 v124, 0xbf1a4643, v59, -v127
	s_delay_alu instid0(VALU_DEP_1) | instskip(SKIP_1) | instid1(VALU_DEP_2)
	v_dual_add_f32 v33, v124, v33 :: v_dual_fmac_f32 v56, 0x3ee437d1, v58
	v_sub_f32_e32 v124, v187, v148
	v_add_f32_e32 v42, v56, v42
	v_fma_f32 v56, 0xbf59a7d5, v59, -v125
	v_fma_f32 v125, 0xbf1a4643, v58, -v55
	s_delay_alu instid0(VALU_DEP_2) | instskip(NEXT) | instid1(VALU_DEP_2)
	v_add_f32_e32 v45, v56, v45
	v_dual_add_f32 v53, v125, v57 :: v_dual_fmamk_f32 v56, v59, 0xbf1a4643, v127
	v_mul_f32_e32 v57, 0x3f2c7751, v126
	v_fmac_f32_e32 v55, 0xbf1a4643, v58
	s_delay_alu instid0(VALU_DEP_2) | instskip(SKIP_2) | instid1(VALU_DEP_4)
	v_fmamk_f32 v125, v59, 0x3f3d2fb0, v57
	v_fma_f32 v57, 0x3f3d2fb0, v59, -v57
	v_mul_f32_e32 v59, 0xbf763a35, v124
	v_dual_add_f32 v32, v55, v32 :: v_dual_sub_f32 v55, v253, v254
	v_add_f32_e32 v48, v56, v48
	v_fma_f32 v56, 0x3f3d2fb0, v58, -v54
	v_dual_add_f32 v47, v125, v47 :: v_dual_fmac_f32 v54, 0x3f3d2fb0, v58
	s_delay_alu instid0(VALU_DEP_4) | instskip(NEXT) | instid1(VALU_DEP_3)
	v_dual_mul_f32 v125, 0xbf763a35, v55 :: v_dual_add_f32 v58, v253, v254
	v_add_f32_e32 v46, v56, v46
	s_delay_alu instid0(VALU_DEP_3) | instskip(SKIP_3) | instid1(VALU_DEP_4)
	v_dual_add_f32 v56, v187, v148 :: v_dual_add_f32 v9, v54, v9
	v_add_f32_e32 v4, v57, v4
	v_mul_f32_e32 v54, 0x3f06c442, v55
	v_fmamk_f32 v57, v58, 0xbe8c1d8e, v59
	v_fma_f32 v126, 0xbe8c1d8e, v56, -v125
	s_delay_alu instid0(VALU_DEP_2) | instskip(NEXT) | instid1(VALU_DEP_2)
	v_add_f32_e32 v10, v57, v10
	v_add_f32_e32 v8, v126, v8
	v_fma_f32 v59, 0xbe8c1d8e, v58, -v59
	v_fma_f32 v126, 0xbf59a7d5, v56, -v54
	s_delay_alu instid0(VALU_DEP_2) | instskip(NEXT) | instid1(VALU_DEP_2)
	v_add_f32_e32 v13, v59, v13
	v_add_f32_e32 v5, v126, v5
	v_fmac_f32_e32 v125, 0xbe8c1d8e, v56
	v_mul_f32_e32 v59, 0x3f2c7751, v55
	v_mul_f32_e32 v57, 0x3f06c442, v124
	v_fmac_f32_e32 v54, 0xbf59a7d5, v56
	s_delay_alu instid0(VALU_DEP_4) | instskip(NEXT) | instid1(VALU_DEP_4)
	v_dual_mul_f32 v126, 0x3f2c7751, v124 :: v_dual_add_f32 v7, v125, v7
	v_fma_f32 v127, 0x3f3d2fb0, v56, -v59
	s_delay_alu instid0(VALU_DEP_4) | instskip(SKIP_3) | instid1(VALU_DEP_4)
	v_fmamk_f32 v125, v58, 0xbf59a7d5, v57
	v_fma_f32 v57, 0xbf59a7d5, v58, -v57
	v_add_f32_e32 v36, v54, v36
	v_dual_fmamk_f32 v54, v58, 0x3f3d2fb0, v126 :: v_dual_fmac_f32 v59, 0x3f3d2fb0, v56
	v_add_f32_e32 v11, v125, v11
	s_delay_alu instid0(VALU_DEP_4) | instskip(NEXT) | instid1(VALU_DEP_3)
	v_dual_add_f32 v6, v57, v6 :: v_dual_mul_f32 v57, 0xbf65296c, v55
	v_add_f32_e32 v37, v54, v37
	v_fma_f32 v125, 0x3f3d2fb0, v58, -v126
	v_dual_add_f32 v14, v59, v14 :: v_dual_mul_f32 v59, 0xbe3c28d5, v55
	s_delay_alu instid0(VALU_DEP_4) | instskip(SKIP_1) | instid1(VALU_DEP_2)
	v_fma_f32 v126, 0x3ee437d1, v56, -v57
	v_fmac_f32_e32 v57, 0x3ee437d1, v56
	v_dual_add_f32 v15, v127, v15 :: v_dual_add_f32 v50, v126, v50
	s_delay_alu instid0(VALU_DEP_4) | instskip(SKIP_2) | instid1(VALU_DEP_3)
	v_fma_f32 v126, 0xbf7ba420, v56, -v59
	v_mul_f32_e32 v54, 0xbf65296c, v124
	v_fmac_f32_e32 v59, 0xbf7ba420, v56
	v_dual_add_f32 v51, v126, v51 :: v_dual_add_f32 v38, v125, v38
	s_delay_alu instid0(VALU_DEP_3) | instskip(SKIP_2) | instid1(VALU_DEP_3)
	v_fmamk_f32 v125, v58, 0x3ee437d1, v54
	v_fma_f32 v54, 0x3ee437d1, v58, -v54
	v_mul_f32_e32 v126, 0x3f7ee86f, v124
	v_dual_add_f32 v42, v59, v42 :: v_dual_add_f32 v39, v125, v39
	v_mul_f32_e32 v125, 0xbe3c28d5, v124
	v_add_f32_e32 v12, v57, v12
	v_add_f32_e32 v40, v54, v40
	s_delay_alu instid0(VALU_DEP_3) | instskip(SKIP_1) | instid1(VALU_DEP_2)
	v_fmamk_f32 v57, v58, 0xbf7ba420, v125
	v_fma_f32 v125, 0xbf7ba420, v58, -v125
	v_add_f32_e32 v41, v57, v41
	s_delay_alu instid0(VALU_DEP_2) | instskip(SKIP_4) | instid1(VALU_DEP_4)
	v_add_f32_e32 v43, v125, v43
	v_fmamk_f32 v57, v58, 0x3dbcf732, v126
	v_mul_f32_e32 v59, 0xbeb8f4ab, v55
	v_fma_f32 v125, 0x3dbcf732, v58, -v126
	v_mul_f32_e32 v54, 0x3f7ee86f, v55
	v_add_f32_e32 v52, v57, v52
	v_mul_f32_e32 v57, 0xbeb8f4ab, v124
	v_fma_f32 v126, 0x3f6eb680, v56, -v59
	v_add_f32_e32 v45, v125, v45
	v_fma_f32 v127, 0x3dbcf732, v56, -v54
	v_fmac_f32_e32 v54, 0x3dbcf732, v56
	v_fmac_f32_e32 v59, 0x3f6eb680, v56
	v_add_f32_e32 v53, v126, v53
	s_delay_alu instid0(VALU_DEP_3) | instskip(SKIP_1) | instid1(VALU_DEP_4)
	v_dual_add_f32 v49, v127, v49 :: v_dual_add_f32 v44, v54, v44
	v_mul_f32_e32 v54, 0xbf4c4adb, v55
	v_dual_fmamk_f32 v55, v58, 0x3f6eb680, v57 :: v_dual_add_f32 v32, v59, v32
	v_fma_f32 v57, 0x3f6eb680, v58, -v57
	s_delay_alu instid0(VALU_DEP_2) | instskip(SKIP_4) | instid1(VALU_DEP_4)
	v_add_f32_e32 v48, v55, v48
	v_mul_f32_e32 v55, 0xbf4c4adb, v124
	v_fma_f32 v125, 0xbf1a4643, v56, -v54
	v_fmac_f32_e32 v54, 0xbf1a4643, v56
	v_dual_sub_f32 v56, v183, v152 :: v_dual_add_f32 v33, v57, v33
	v_fmamk_f32 v59, v58, 0xbf1a4643, v55
	v_fma_f32 v55, 0xbf1a4643, v58, -v55
	s_delay_alu instid0(VALU_DEP_4) | instskip(NEXT) | instid1(VALU_DEP_3)
	v_dual_add_f32 v58, v251, v252 :: v_dual_add_f32 v9, v54, v9
	v_dual_mul_f32 v126, 0xbf4c4adb, v56 :: v_dual_add_f32 v47, v59, v47
	v_dual_sub_f32 v57, v251, v252 :: v_dual_add_f32 v46, v125, v46
	v_mul_f32_e32 v127, 0xbeb8f4ab, v56
	s_delay_alu instid0(VALU_DEP_3) | instskip(NEXT) | instid1(VALU_DEP_3)
	v_fmamk_f32 v54, v58, 0xbf1a4643, v126
	v_dual_add_f32 v124, v183, v152 :: v_dual_mul_f32 v125, 0xbf4c4adb, v57
	v_dual_add_f32 v4, v55, v4 :: v_dual_mul_f32 v55, 0x3f763a35, v57
	s_delay_alu instid0(VALU_DEP_3) | instskip(NEXT) | instid1(VALU_DEP_3)
	v_add_f32_e32 v10, v54, v10
	v_fma_f32 v59, 0xbf1a4643, v124, -v125
	v_fmac_f32_e32 v125, 0xbf1a4643, v124
	s_delay_alu instid0(VALU_DEP_4) | instskip(SKIP_1) | instid1(VALU_DEP_3)
	v_fma_f32 v54, 0xbe8c1d8e, v124, -v55
	v_fmac_f32_e32 v55, 0xbe8c1d8e, v124
	v_dual_add_f32 v8, v59, v8 :: v_dual_add_f32 v7, v125, v7
	s_delay_alu instid0(VALU_DEP_3) | instskip(SKIP_3) | instid1(VALU_DEP_3)
	v_add_f32_e32 v5, v54, v5
	v_fma_f32 v59, 0xbf1a4643, v58, -v126
	v_mul_f32_e32 v126, 0x3f763a35, v56
	v_dual_add_f32 v36, v55, v36 :: v_dual_mul_f32 v55, 0xbf06c442, v57
	v_add_f32_e32 v13, v59, v13
	v_mul_f32_e32 v59, 0xbeb8f4ab, v57
	s_delay_alu instid0(VALU_DEP_4) | instskip(SKIP_1) | instid1(VALU_DEP_3)
	v_fmamk_f32 v54, v58, 0xbe8c1d8e, v126
	v_fma_f32 v125, 0xbe8c1d8e, v58, -v126
	v_fma_f32 v126, 0x3f6eb680, v124, -v59
	s_delay_alu instid0(VALU_DEP_2) | instskip(SKIP_2) | instid1(VALU_DEP_4)
	v_dual_fmac_f32 v59, 0x3f6eb680, v124 :: v_dual_add_f32 v6, v125, v6
	v_fma_f32 v125, 0x3f6eb680, v58, -v127
	v_add_f32_e32 v11, v54, v11
	v_dual_add_f32 v15, v126, v15 :: v_dual_mul_f32 v126, 0xbf06c442, v56
	s_delay_alu instid0(VALU_DEP_4) | instskip(NEXT) | instid1(VALU_DEP_2)
	v_add_f32_e32 v14, v59, v14
	v_dual_add_f32 v38, v125, v38 :: v_dual_fmamk_f32 v59, v58, 0xbf59a7d5, v126
	v_fmamk_f32 v54, v58, 0x3f6eb680, v127
	v_mul_f32_e32 v127, 0xbf2c7751, v56
	s_delay_alu instid0(VALU_DEP_3) | instskip(NEXT) | instid1(VALU_DEP_3)
	v_add_f32_e32 v39, v59, v39
	v_add_f32_e32 v37, v54, v37
	v_fma_f32 v54, 0xbf59a7d5, v124, -v55
	s_delay_alu instid0(VALU_DEP_1) | instskip(SKIP_3) | instid1(VALU_DEP_3)
	v_add_f32_e32 v50, v54, v50
	v_fma_f32 v54, 0xbf59a7d5, v58, -v126
	v_dual_mul_f32 v126, 0x3f7ee86f, v56 :: v_dual_mul_f32 v125, 0x3f7ee86f, v57
	v_fmac_f32_e32 v55, 0xbf59a7d5, v124
	v_add_f32_e32 v40, v54, v40
	s_delay_alu instid0(VALU_DEP_3) | instskip(SKIP_1) | instid1(VALU_DEP_4)
	v_fma_f32 v59, 0x3dbcf732, v124, -v125
	v_mul_f32_e32 v54, 0xbf2c7751, v57
	v_dual_add_f32 v12, v55, v12 :: v_dual_fmamk_f32 v55, v58, 0x3dbcf732, v126
	s_delay_alu instid0(VALU_DEP_3) | instskip(SKIP_1) | instid1(VALU_DEP_4)
	v_add_f32_e32 v51, v59, v51
	v_fma_f32 v59, 0x3dbcf732, v58, -v126
	v_fma_f32 v126, 0x3f3d2fb0, v124, -v54
	s_delay_alu instid0(VALU_DEP_4) | instskip(SKIP_1) | instid1(VALU_DEP_4)
	v_dual_add_f32 v41, v55, v41 :: v_dual_fmac_f32 v54, 0x3f3d2fb0, v124
	v_fmamk_f32 v55, v58, 0x3f3d2fb0, v127
	v_add_f32_e32 v43, v59, v43
	s_delay_alu instid0(VALU_DEP_4) | instskip(SKIP_3) | instid1(VALU_DEP_2)
	v_add_f32_e32 v49, v126, v49
	v_mul_f32_e32 v59, 0xbe3c28d5, v57
	v_fma_f32 v126, 0x3f3d2fb0, v58, -v127
	v_dual_mul_f32 v57, 0x3f65296c, v57 :: v_dual_add_f32 v44, v54, v44
	v_dual_add_f32 v45, v126, v45 :: v_dual_sub_f32 v126, v179, v156
	v_add_f32_e32 v52, v55, v52
	v_fma_f32 v55, 0xbf7ba420, v124, -v59
	s_delay_alu instid0(VALU_DEP_3) | instskip(NEXT) | instid1(VALU_DEP_2)
	v_mul_f32_e32 v127, 0xbf06c442, v126
	v_add_f32_e32 v53, v55, v53
	v_fma_f32 v55, 0x3ee437d1, v124, -v57
	s_delay_alu instid0(VALU_DEP_1) | instskip(NEXT) | instid1(VALU_DEP_1)
	v_dual_fmac_f32 v125, 0x3dbcf732, v124 :: v_dual_add_f32 v46, v55, v46
	v_dual_add_f32 v42, v125, v42 :: v_dual_mul_f32 v125, 0xbe3c28d5, v56
	v_mul_f32_e32 v56, 0x3f65296c, v56
	s_delay_alu instid0(VALU_DEP_2) | instskip(NEXT) | instid1(VALU_DEP_1)
	v_fmamk_f32 v54, v58, 0xbf7ba420, v125
	v_add_f32_e32 v48, v54, v48
	v_fmac_f32_e32 v59, 0xbf7ba420, v124
	v_fma_f32 v54, 0xbf7ba420, v58, -v125
	s_delay_alu instid0(VALU_DEP_2) | instskip(NEXT) | instid1(VALU_DEP_2)
	v_dual_add_f32 v32, v59, v32 :: v_dual_sub_f32 v59, v249, v250
	v_add_f32_e32 v33, v54, v33
	v_fmamk_f32 v54, v58, 0x3ee437d1, v56
	v_fma_f32 v56, 0x3ee437d1, v58, -v56
	v_dual_add_f32 v58, v249, v250 :: v_dual_add_f32 v55, v179, v156
	s_delay_alu instid0(VALU_DEP_2) | instskip(NEXT) | instid1(VALU_DEP_2)
	v_dual_add_f32 v47, v54, v47 :: v_dual_add_f32 v4, v56, v4
	v_fmamk_f32 v54, v58, 0xbf59a7d5, v127
	v_mul_f32_e32 v56, 0x3f65296c, v59
	s_delay_alu instid0(VALU_DEP_2) | instskip(NEXT) | instid1(VALU_DEP_2)
	v_dual_fmac_f32 v57, 0x3ee437d1, v124 :: v_dual_add_f32 v10, v54, v10
	v_fma_f32 v54, 0x3ee437d1, v55, -v56
	v_fmac_f32_e32 v56, 0x3ee437d1, v55
	v_mul_f32_e32 v125, 0xbf06c442, v59
	s_delay_alu instid0(VALU_DEP_4) | instskip(SKIP_1) | instid1(VALU_DEP_4)
	v_add_f32_e32 v9, v57, v9
	v_fma_f32 v57, 0xbf59a7d5, v58, -v127
	v_dual_add_f32 v5, v54, v5 :: v_dual_add_f32 v36, v56, v36
	s_delay_alu instid0(VALU_DEP_4) | instskip(SKIP_1) | instid1(VALU_DEP_4)
	v_fma_f32 v124, 0xbf59a7d5, v55, -v125
	v_fmac_f32_e32 v125, 0xbf59a7d5, v55
	v_add_f32_e32 v13, v57, v13
	s_delay_alu instid0(VALU_DEP_3) | instskip(SKIP_1) | instid1(VALU_DEP_1)
	v_dual_mul_f32 v127, 0x3f4c4adb, v126 :: v_dual_add_f32 v8, v124, v8
	v_mul_f32_e32 v124, 0x3f65296c, v126
	v_fmamk_f32 v57, v58, 0x3ee437d1, v124
	v_fma_f32 v54, 0x3ee437d1, v58, -v124
	v_dual_mul_f32 v124, 0xbf7ee86f, v126 :: v_dual_add_f32 v7, v125, v7
	v_mul_f32_e32 v125, 0xbf7ee86f, v59
	s_delay_alu instid0(VALU_DEP_3) | instskip(SKIP_1) | instid1(VALU_DEP_4)
	v_dual_add_f32 v11, v57, v11 :: v_dual_add_f32 v6, v54, v6
	v_mul_f32_e32 v54, 0x3f4c4adb, v59
	v_fmamk_f32 v56, v58, 0x3dbcf732, v124
	s_delay_alu instid0(VALU_DEP_4) | instskip(NEXT) | instid1(VALU_DEP_2)
	v_fma_f32 v57, 0x3dbcf732, v55, -v125
	v_add_f32_e32 v37, v56, v37
	s_delay_alu instid0(VALU_DEP_2) | instskip(SKIP_4) | instid1(VALU_DEP_4)
	v_add_f32_e32 v15, v57, v15
	v_fma_f32 v57, 0x3dbcf732, v58, -v124
	v_fma_f32 v124, 0xbf1a4643, v55, -v54
	v_fmamk_f32 v56, v58, 0xbf1a4643, v127
	v_fmac_f32_e32 v54, 0xbf1a4643, v55
	v_add_f32_e32 v38, v57, v38
	s_delay_alu instid0(VALU_DEP_4) | instskip(SKIP_1) | instid1(VALU_DEP_4)
	v_dual_add_f32 v50, v124, v50 :: v_dual_mul_f32 v57, 0xbeb8f4ab, v59
	v_fma_f32 v124, 0xbf1a4643, v58, -v127
	v_dual_add_f32 v39, v56, v39 :: v_dual_add_f32 v12, v54, v12
	v_mul_f32_e32 v127, 0x3f2c7751, v126
	s_delay_alu instid0(VALU_DEP_4) | instskip(NEXT) | instid1(VALU_DEP_4)
	v_fma_f32 v56, 0x3f6eb680, v55, -v57
	v_dual_add_f32 v40, v124, v40 :: v_dual_fmac_f32 v57, 0x3f6eb680, v55
	v_fmac_f32_e32 v125, 0x3dbcf732, v55
	s_delay_alu instid0(VALU_DEP_2) | instskip(NEXT) | instid1(VALU_DEP_2)
	v_dual_add_f32 v51, v56, v51 :: v_dual_add_f32 v42, v57, v42
	v_add_f32_e32 v14, v125, v14
	v_mul_f32_e32 v125, 0xbeb8f4ab, v126
	s_delay_alu instid0(VALU_DEP_1) | instskip(SKIP_3) | instid1(VALU_DEP_4)
	v_fmamk_f32 v54, v58, 0x3f6eb680, v125
	v_mul_f32_e32 v124, 0xbe3c28d5, v59
	v_fma_f32 v56, 0x3f6eb680, v58, -v125
	v_mul_f32_e32 v125, 0xbe3c28d5, v126
	v_add_f32_e32 v41, v54, v41
	s_delay_alu instid0(VALU_DEP_4) | instskip(NEXT) | instid1(VALU_DEP_1)
	v_fma_f32 v54, 0xbf7ba420, v55, -v124
	v_dual_fmac_f32 v124, 0xbf7ba420, v55 :: v_dual_add_f32 v49, v54, v49
	s_delay_alu instid0(VALU_DEP_1) | instskip(SKIP_1) | instid1(VALU_DEP_1)
	v_add_f32_e32 v44, v124, v44
	v_fma_f32 v124, 0x3f3d2fb0, v58, -v127
	v_dual_add_f32 v33, v124, v33 :: v_dual_sub_f32 v124, v247, v248
	v_fmamk_f32 v54, v58, 0xbf7ba420, v125
	v_fma_f32 v57, 0xbf7ba420, v58, -v125
	s_delay_alu instid0(VALU_DEP_1) | instskip(SKIP_3) | instid1(VALU_DEP_3)
	v_dual_add_f32 v52, v54, v52 :: v_dual_add_f32 v45, v57, v45
	v_fmamk_f32 v54, v58, 0x3f3d2fb0, v127
	v_mul_f32_e32 v57, 0xbf763a35, v59
	v_sub_f32_e32 v127, v211, v220
	v_add_f32_e32 v48, v54, v48
	s_delay_alu instid0(VALU_DEP_3)
	v_fma_f32 v54, 0xbe8c1d8e, v55, -v57
	v_add_f32_e32 v43, v56, v43
	v_mul_f32_e32 v56, 0x3f2c7751, v59
	v_mul_f32_e32 v59, 0xbf763a35, v126
	;; [unrolled: 1-line block ×3, first 2 shown]
	v_add_f32_e32 v46, v54, v46
	v_add_f32_e32 v54, v164, v160
	v_fma_f32 v125, 0x3f3d2fb0, v55, -v56
	s_delay_alu instid0(VALU_DEP_1) | instskip(NEXT) | instid1(VALU_DEP_1)
	v_dual_add_f32 v53, v125, v53 :: v_dual_fmac_f32 v56, 0x3f3d2fb0, v55
	v_dual_fmamk_f32 v125, v58, 0xbe8c1d8e, v59 :: v_dual_add_f32 v56, v56, v32
	s_delay_alu instid0(VALU_DEP_1) | instskip(SKIP_4) | instid1(VALU_DEP_4)
	v_add_f32_e32 v47, v125, v47
	v_sub_f32_e32 v125, v164, v160
	v_fma_f32 v32, 0xbe8c1d8e, v58, -v59
	v_fma_f32 v59, 0xbf7ba420, v54, -v126
	v_fmac_f32_e32 v126, 0xbf7ba420, v54
	v_mul_f32_e32 v58, 0xbe3c28d5, v125
	s_delay_alu instid0(VALU_DEP_4) | instskip(SKIP_3) | instid1(VALU_DEP_4)
	v_dual_add_f32 v32, v32, v4 :: v_dual_fmac_f32 v57, 0xbe8c1d8e, v55
	v_add_f32_e32 v55, v247, v248
	v_mul_f32_e32 v4, 0x3eb8f4ab, v124
	v_add_f32_e32 v164, v59, v8
	v_dual_add_f32 v130, v126, v7 :: v_dual_add_f32 v9, v57, v9
	s_delay_alu instid0(VALU_DEP_4) | instskip(NEXT) | instid1(VALU_DEP_1)
	v_fmamk_f32 v57, v55, 0xbf7ba420, v58
	v_dual_add_f32 v126, v67, v233 :: v_dual_add_f32 v165, v57, v10
	v_mul_f32_e32 v10, 0x3eb8f4ab, v125
	v_fma_f32 v8, 0xbf7ba420, v55, -v58
	v_fma_f32 v58, 0x3f6eb680, v54, -v4
	v_dual_fmac_f32 v4, 0x3f6eb680, v54 :: v_dual_add_f32 v57, v190, v175
	s_delay_alu instid0(VALU_DEP_3) | instskip(NEXT) | instid1(VALU_DEP_3)
	v_add_f32_e32 v131, v8, v13
	v_dual_add_f32 v160, v58, v5 :: v_dual_mul_f32 v5, 0xbf06c442, v124
	v_mul_f32_e32 v8, 0xbf06c442, v125
	s_delay_alu instid0(VALU_DEP_4) | instskip(NEXT) | instid1(VALU_DEP_3)
	v_add_f32_e32 v132, v4, v36
	v_fma_f32 v13, 0xbf59a7d5, v54, -v5
	s_delay_alu instid0(VALU_DEP_1) | instskip(SKIP_3) | instid1(VALU_DEP_3)
	v_dual_add_f32 v162, v13, v15 :: v_dual_fmac_f32 v5, 0xbf59a7d5, v54
	v_fmamk_f32 v7, v55, 0x3f6eb680, v10
	v_fma_f32 v10, 0x3f6eb680, v55, -v10
	v_fmamk_f32 v4, v55, 0xbf59a7d5, v8
	v_dual_add_f32 v134, v5, v14 :: v_dual_add_f32 v161, v7, v11
	s_delay_alu instid0(VALU_DEP_3) | instskip(NEXT) | instid1(VALU_DEP_3)
	v_dual_add_f32 v133, v10, v6 :: v_dual_mul_f32 v6, 0x3f2c7751, v124
	v_add_f32_e32 v163, v4, v37
	v_fma_f32 v4, 0xbf59a7d5, v55, -v8
	s_delay_alu instid0(VALU_DEP_3) | instskip(SKIP_1) | instid1(VALU_DEP_3)
	v_fma_f32 v8, 0x3f3d2fb0, v54, -v6
	v_mul_f32_e32 v7, 0x3f2c7751, v125
	v_add_f32_e32 v135, v4, v38
	v_add_f32_e32 v4, v34, v194
	s_delay_alu instid0(VALU_DEP_4) | instskip(NEXT) | instid1(VALU_DEP_4)
	v_add_f32_e32 v156, v8, v50
	v_fmamk_f32 v10, v55, 0x3f3d2fb0, v7
	v_fmac_f32_e32 v6, 0x3f3d2fb0, v54
	v_fma_f32 v5, 0x3f3d2fb0, v55, -v7
	v_dual_add_f32 v8, v35, v246 :: v_dual_mul_f32 v7, 0xbf4c4adb, v125
	s_delay_alu instid0(VALU_DEP_4) | instskip(NEXT) | instid1(VALU_DEP_4)
	v_add_f32_e32 v157, v10, v39
	v_add_f32_e32 v136, v6, v12
	s_delay_alu instid0(VALU_DEP_4) | instskip(SKIP_3) | instid1(VALU_DEP_3)
	v_add_f32_e32 v137, v5, v40
	v_mul_f32_e32 v6, 0xbf4c4adb, v124
	v_add_f32_e32 v8, v8, v245
	v_fmamk_f32 v10, v55, 0xbf1a4643, v7
	v_fma_f32 v5, 0xbf1a4643, v54, -v6
	v_fmac_f32_e32 v6, 0xbf1a4643, v54
	s_delay_alu instid0(VALU_DEP_1) | instskip(SKIP_1) | instid1(VALU_DEP_4)
	v_add_f32_e32 v138, v6, v42
	v_fma_f32 v6, 0xbf1a4643, v55, -v7
	v_dual_mul_f32 v7, 0x3f65296c, v124 :: v_dual_add_f32 v158, v5, v51
	v_add_f32_e32 v5, v8, v244
	v_dual_add_f32 v4, v4, v190 :: v_dual_add_f32 v159, v10, v41
	s_delay_alu instid0(VALU_DEP_4) | instskip(NEXT) | instid1(VALU_DEP_2)
	v_dual_add_f32 v139, v6, v43 :: v_dual_mul_f32 v8, 0x3f65296c, v125
	v_dual_add_f32 v5, v5, v243 :: v_dual_add_f32 v4, v4, v186
	v_fma_f32 v6, 0x3ee437d1, v54, -v7
	v_fmac_f32_e32 v7, 0x3ee437d1, v54
	s_delay_alu instid0(VALU_DEP_3) | instskip(NEXT) | instid1(VALU_DEP_1)
	v_dual_add_f32 v5, v5, v242 :: v_dual_add_f32 v4, v4, v180
	v_dual_add_f32 v150, v6, v49 :: v_dual_add_f32 v5, v5, v0
	s_delay_alu instid0(VALU_DEP_1) | instskip(NEXT) | instid1(VALU_DEP_1)
	v_dual_add_f32 v4, v4, v176 :: v_dual_add_f32 v5, v5, v193
	v_dual_fmamk_f32 v10, v55, 0x3ee437d1, v8 :: v_dual_add_f32 v5, v5, v192
	s_delay_alu instid0(VALU_DEP_1) | instskip(SKIP_1) | instid1(VALU_DEP_4)
	v_add_f32_e32 v151, v10, v52
	v_fma_f32 v6, 0x3ee437d1, v55, -v8
	v_add_f32_e32 v4, v4, v172
	s_delay_alu instid0(VALU_DEP_4) | instskip(SKIP_2) | instid1(VALU_DEP_4)
	v_dual_mul_f32 v8, 0xbf763a35, v125 :: v_dual_add_f32 v5, v5, v188
	v_add_f32_e32 v142, v7, v44
	v_mul_f32_e32 v7, 0xbf763a35, v124
	v_dual_add_f32 v143, v6, v45 :: v_dual_add_f32 v4, v4, v168
	s_delay_alu instid0(VALU_DEP_4) | instskip(NEXT) | instid1(VALU_DEP_3)
	v_dual_add_f32 v5, v5, v189 :: v_dual_fmamk_f32 v10, v55, 0xbe8c1d8e, v8
	v_fma_f32 v6, 0xbe8c1d8e, v54, -v7
	v_fmac_f32_e32 v7, 0xbe8c1d8e, v54
	s_delay_alu instid0(VALU_DEP_3) | instskip(NEXT) | instid1(VALU_DEP_4)
	v_add_f32_e32 v5, v5, v184
	v_add_f32_e32 v153, v10, v48
	s_delay_alu instid0(VALU_DEP_4) | instskip(SKIP_4) | instid1(VALU_DEP_4)
	v_add_f32_e32 v152, v6, v53
	v_fma_f32 v6, 0xbe8c1d8e, v55, -v8
	v_add_f32_e32 v4, v4, v140
	v_dual_add_f32 v144, v7, v56 :: v_dual_add_f32 v5, v5, v185
	v_mul_f32_e32 v8, 0x3f7ee86f, v125
	v_add_f32_e32 v145, v6, v33
	s_delay_alu instid0(VALU_DEP_4) | instskip(NEXT) | instid1(VALU_DEP_4)
	v_dual_add_f32 v4, v4, v141 :: v_dual_mul_f32 v7, 0x3f7ee86f, v124
	v_add_f32_e32 v36, v5, v181
	s_delay_alu instid0(VALU_DEP_4) | instskip(NEXT) | instid1(VALU_DEP_3)
	v_fmamk_f32 v10, v55, 0x3dbcf732, v8
	v_add_f32_e32 v4, v4, v169
	s_delay_alu instid0(VALU_DEP_4) | instskip(NEXT) | instid1(VALU_DEP_4)
	v_fma_f32 v6, 0x3dbcf732, v54, -v7
	v_add_f32_e32 v5, v36, v182
	v_fmac_f32_e32 v7, 0x3dbcf732, v54
	s_delay_alu instid0(VALU_DEP_4) | instskip(NEXT) | instid1(VALU_DEP_3)
	v_dual_add_f32 v147, v10, v47 :: v_dual_add_f32 v4, v4, v170
	v_dual_add_f32 v10, v246, v178 :: v_dual_add_f32 v5, v5, v177
	s_delay_alu instid0(VALU_DEP_3) | instskip(NEXT) | instid1(VALU_DEP_3)
	v_dual_add_f32 v148, v7, v9 :: v_dual_sub_f32 v7, v194, v166
	v_add_f32_e32 v4, v4, v171
	s_delay_alu instid0(VALU_DEP_1) | instskip(SKIP_2) | instid1(VALU_DEP_3)
	v_dual_mul_f32 v11, 0xbeb8f4ab, v7 :: v_dual_add_f32 v4, v4, v173
	v_mul_f32_e32 v39, 0xbf7ee86f, v7
	v_mul_f32_e32 v51, 0xbf06c442, v7
	v_add_f32_e32 v37, v4, v174
	v_sub_f32_e32 v4, v246, v178
	v_add_f32_e32 v167, v5, v178
	v_fmamk_f32 v5, v10, 0x3f6eb680, v11
	v_add_f32_e32 v146, v6, v46
	v_fma_f32 v33, 0x3dbcf732, v55, -v8
	v_dual_mul_f32 v9, 0xbeb8f4ab, v4 :: v_dual_add_f32 v8, v194, v166
	s_delay_alu instid0(VALU_DEP_4) | instskip(SKIP_1) | instid1(VALU_DEP_4)
	v_dual_add_f32 v5, v35, v5 :: v_dual_add_f32 v6, v37, v175
	v_mul_f32_e32 v15, 0xbf65296c, v4
	v_add_f32_e32 v149, v33, v32
	s_delay_alu instid0(VALU_DEP_4) | instskip(NEXT) | instid1(VALU_DEP_4)
	v_fma_f32 v12, 0x3f6eb680, v8, -v9
	v_dual_fmac_f32 v9, 0x3f6eb680, v8 :: v_dual_add_f32 v166, v6, v166
	v_fma_f32 v11, 0x3f6eb680, v10, -v11
	v_fma_f32 v33, 0x3ee437d1, v8, -v15
	v_mul_f32_e32 v36, 0xbf65296c, v7
	s_delay_alu instid0(VALU_DEP_4) | instskip(NEXT) | instid1(VALU_DEP_4)
	v_dual_mul_f32 v14, 0xbf2c7751, v7 :: v_dual_add_f32 v9, v34, v9
	v_add_f32_e32 v11, v35, v11
	s_delay_alu instid0(VALU_DEP_4) | instskip(NEXT) | instid1(VALU_DEP_4)
	v_add_f32_e32 v33, v34, v33
	v_fmamk_f32 v37, v10, 0x3ee437d1, v36
	v_fma_f32 v36, 0x3ee437d1, v10, -v36
	v_add_f32_e32 v12, v34, v12
	v_fmamk_f32 v41, v10, 0x3dbcf732, v39
	v_mul_f32_e32 v38, 0xbf7ee86f, v4
	v_fma_f32 v39, 0x3dbcf732, v10, -v39
	v_add_f32_e32 v36, v35, v36
	v_dual_fmamk_f32 v32, v10, 0x3f3d2fb0, v14 :: v_dual_add_f32 v37, v35, v37
	v_fma_f32 v14, 0x3f3d2fb0, v10, -v14
	s_delay_alu instid0(VALU_DEP_4) | instskip(SKIP_2) | instid1(VALU_DEP_4)
	v_dual_mul_f32 v42, 0xbf763a35, v4 :: v_dual_add_f32 v39, v35, v39
	v_add_f32_e32 v41, v35, v41
	v_fma_f32 v40, 0x3dbcf732, v8, -v38
	v_add_f32_e32 v14, v35, v14
	s_delay_alu instid0(VALU_DEP_4)
	v_fma_f32 v43, 0xbe8c1d8e, v8, -v42
	v_fmac_f32_e32 v38, 0x3dbcf732, v8
	v_mul_f32_e32 v45, 0xbf4c4adb, v4
	v_add_f32_e32 v40, v34, v40
	v_fmamk_f32 v53, v10, 0xbf59a7d5, v51
	v_add_f32_e32 v43, v34, v43
	v_add_f32_e32 v38, v34, v38
	v_fma_f32 v47, 0xbf1a4643, v8, -v45
	v_fmac_f32_e32 v42, 0xbe8c1d8e, v8
	v_fmac_f32_e32 v45, 0xbf1a4643, v8
	v_mul_f32_e32 v48, 0xbf4c4adb, v7
	v_fma_f32 v51, 0xbf59a7d5, v10, -v51
	v_add_f32_e32 v47, v34, v47
	v_add_f32_e32 v42, v34, v42
	;; [unrolled: 1-line block ×3, first 2 shown]
	v_fmamk_f32 v49, v10, 0xbf1a4643, v48
	v_fma_f32 v48, 0xbf1a4643, v10, -v48
	v_dual_mul_f32 v50, 0xbf06c442, v4 :: v_dual_add_f32 v51, v35, v51
	v_dual_mul_f32 v6, 0xbf2c7751, v4 :: v_dual_sub_f32 v55, v245, v177
	s_delay_alu instid0(VALU_DEP_3) | instskip(SKIP_1) | instid1(VALU_DEP_4)
	v_add_f32_e32 v48, v35, v48
	v_dual_mul_f32 v44, 0xbf763a35, v7 :: v_dual_add_f32 v49, v35, v49
	v_fma_f32 v52, 0xbf59a7d5, v8, -v50
	v_fmac_f32_e32 v50, 0xbf59a7d5, v8
	v_fma_f32 v13, 0x3f3d2fb0, v8, -v6
	s_delay_alu instid0(VALU_DEP_4) | instskip(SKIP_1) | instid1(VALU_DEP_3)
	v_dual_fmamk_f32 v46, v10, 0xbe8c1d8e, v44 :: v_dual_add_f32 v53, v35, v53
	v_fma_f32 v44, 0xbe8c1d8e, v10, -v44
	v_dual_fmac_f32 v6, 0x3f3d2fb0, v8 :: v_dual_add_f32 v13, v34, v13
	s_delay_alu instid0(VALU_DEP_3) | instskip(NEXT) | instid1(VALU_DEP_3)
	v_dual_add_f32 v46, v35, v46 :: v_dual_mul_f32 v7, 0xbe3c28d5, v7
	v_add_f32_e32 v44, v35, v44
	v_mul_f32_e32 v4, 0xbe3c28d5, v4
	v_mul_f32_e32 v58, 0xbf2c7751, v55
	v_sub_f32_e32 v59, v190, v175
	v_dual_add_f32 v6, v34, v6 :: v_dual_fmac_f32 v15, 0x3ee437d1, v8
	s_delay_alu instid0(VALU_DEP_4)
	v_fma_f32 v54, 0xbf7ba420, v8, -v4
	v_fmamk_f32 v56, v10, 0xbf7ba420, v7
	v_fmac_f32_e32 v4, 0xbf7ba420, v8
	v_fma_f32 v7, 0xbf7ba420, v10, -v7
	v_dual_add_f32 v8, v245, v177 :: v_dual_mul_f32 v125, 0xbe3c28d5, v59
	v_fma_f32 v10, 0x3f3d2fb0, v57, -v58
	v_fmac_f32_e32 v58, 0x3f3d2fb0, v57
	v_mul_f32_e32 v124, 0xbf2c7751, v59
	v_dual_add_f32 v32, v35, v32 :: v_dual_add_f32 v15, v34, v15
	v_dual_add_f32 v52, v34, v52 :: v_dual_add_f32 v7, v35, v7
	v_add_f32_e32 v56, v35, v56
	v_add_f32_e32 v10, v10, v12
	v_dual_add_f32 v9, v58, v9 :: v_dual_fmamk_f32 v12, v8, 0x3f3d2fb0, v124
	v_fma_f32 v35, 0x3f3d2fb0, v8, -v124
	v_mul_f32_e32 v124, 0xbf7ee86f, v59
	v_add_f32_e32 v54, v34, v54
	v_mul_f32_e32 v58, 0xbf4c4adb, v55
	s_delay_alu instid0(VALU_DEP_4) | instskip(NEXT) | instid1(VALU_DEP_4)
	v_dual_add_f32 v4, v34, v4 :: v_dual_add_f32 v11, v35, v11
	v_fmamk_f32 v35, v8, 0x3dbcf732, v124
	s_delay_alu instid0(VALU_DEP_1) | instskip(NEXT) | instid1(VALU_DEP_4)
	v_dual_sub_f32 v245, v209, v3 :: v_dual_add_f32 v32, v35, v32
	v_fma_f32 v35, 0xbf1a4643, v57, -v58
	v_fmac_f32_e32 v58, 0xbf1a4643, v57
	s_delay_alu instid0(VALU_DEP_2) | instskip(NEXT) | instid1(VALU_DEP_2)
	v_add_f32_e32 v33, v35, v33
	v_add_f32_e32 v15, v58, v15
	v_dual_add_f32 v50, v34, v50 :: v_dual_add_f32 v5, v12, v5
	v_mul_f32_e32 v34, 0xbf7ee86f, v55
	v_fma_f32 v58, 0xbf7ba420, v8, -v125
	s_delay_alu instid0(VALU_DEP_2) | instskip(NEXT) | instid1(VALU_DEP_1)
	v_fma_f32 v12, 0x3dbcf732, v57, -v34
	v_add_f32_e32 v12, v12, v13
	v_fma_f32 v13, 0x3dbcf732, v8, -v124
	s_delay_alu instid0(VALU_DEP_1) | instskip(NEXT) | instid1(VALU_DEP_1)
	v_dual_mul_f32 v124, 0xbf4c4adb, v59 :: v_dual_add_f32 v13, v13, v14
	v_fma_f32 v35, 0xbf1a4643, v8, -v124
	s_delay_alu instid0(VALU_DEP_1) | instskip(SKIP_1) | instid1(VALU_DEP_1)
	v_dual_mul_f32 v14, 0xbe3c28d5, v55 :: v_dual_add_f32 v35, v35, v36
	v_fmac_f32_e32 v34, 0x3dbcf732, v57
	v_add_f32_e32 v6, v34, v6
	v_fmamk_f32 v34, v8, 0xbf1a4643, v124
	s_delay_alu instid0(VALU_DEP_4) | instskip(SKIP_1) | instid1(VALU_DEP_3)
	v_fma_f32 v124, 0xbf7ba420, v57, -v14
	v_fmac_f32_e32 v14, 0xbf7ba420, v57
	v_add_f32_e32 v34, v34, v37
	s_delay_alu instid0(VALU_DEP_3) | instskip(SKIP_4) | instid1(VALU_DEP_4)
	v_add_f32_e32 v36, v124, v40
	v_fmamk_f32 v37, v8, 0xbf7ba420, v125
	v_mul_f32_e32 v40, 0x3f06c442, v55
	v_mul_f32_e32 v124, 0x3f06c442, v59
	;; [unrolled: 1-line block ×3, first 2 shown]
	v_add_f32_e32 v37, v37, v41
	s_delay_alu instid0(VALU_DEP_4) | instskip(NEXT) | instid1(VALU_DEP_1)
	v_fma_f32 v41, 0xbf59a7d5, v57, -v40
	v_dual_fmac_f32 v40, 0xbf59a7d5, v57 :: v_dual_add_f32 v41, v41, v43
	v_fma_f32 v43, 0xbf59a7d5, v8, -v124
	s_delay_alu instid0(VALU_DEP_2) | instskip(NEXT) | instid1(VALU_DEP_2)
	v_add_f32_e32 v40, v40, v42
	v_dual_add_f32 v42, v43, v44 :: v_dual_mul_f32 v43, 0x3f65296c, v55
	v_add_f32_e32 v14, v14, v38
	v_dual_add_f32 v38, v58, v39 :: v_dual_fmamk_f32 v39, v8, 0xbf59a7d5, v124
	v_mul_f32_e32 v58, 0x3f763a35, v55
	s_delay_alu instid0(VALU_DEP_2) | instskip(NEXT) | instid1(VALU_DEP_2)
	v_dual_mul_f32 v124, 0x3f763a35, v59 :: v_dual_add_f32 v39, v39, v46
	v_fma_f32 v46, 0xbe8c1d8e, v57, -v58
	v_fmac_f32_e32 v58, 0xbe8c1d8e, v57
	s_delay_alu instid0(VALU_DEP_2) | instskip(NEXT) | instid1(VALU_DEP_4)
	v_add_f32_e32 v44, v46, v47
	v_fmamk_f32 v46, v8, 0xbe8c1d8e, v124
	v_fma_f32 v47, 0xbe8c1d8e, v8, -v124
	v_fma_f32 v124, 0x3ee437d1, v57, -v43
	v_add_f32_e32 v45, v58, v45
	v_fmac_f32_e32 v43, 0x3ee437d1, v57
	v_fma_f32 v58, 0x3ee437d1, v8, -v125
	v_add_f32_e32 v47, v47, v48
	v_add_f32_e32 v48, v124, v52
	v_mul_f32_e32 v52, 0x3eb8f4ab, v55
	v_mul_f32_e32 v55, 0x3eb8f4ab, v59
	v_dual_add_f32 v43, v43, v50 :: v_dual_add_f32 v50, v58, v51
	v_dual_sub_f32 v51, v244, v182 :: v_dual_add_f32 v46, v46, v49
	v_fmamk_f32 v49, v8, 0x3ee437d1, v125
	s_delay_alu instid0(VALU_DEP_4) | instskip(SKIP_2) | instid1(VALU_DEP_4)
	v_fmamk_f32 v59, v8, 0x3f6eb680, v55
	v_fma_f32 v8, 0x3f6eb680, v8, -v55
	v_add_f32_e32 v55, v244, v182
	v_dual_sub_f32 v244, v64, v231 :: v_dual_add_f32 v49, v49, v53
	v_fma_f32 v53, 0x3f6eb680, v57, -v52
	s_delay_alu instid0(VALU_DEP_4) | instskip(NEXT) | instid1(VALU_DEP_2)
	v_add_f32_e32 v7, v8, v7
	v_dual_mul_f32 v8, 0xbf4c4adb, v51 :: v_dual_add_f32 v53, v53, v54
	v_add_f32_e32 v54, v59, v56
	v_add_f32_e32 v56, v186, v174
	v_dual_sub_f32 v58, v186, v174 :: v_dual_mul_f32 v59, 0xbf65296c, v51
	v_fmac_f32_e32 v52, 0x3f6eb680, v57
	s_delay_alu instid0(VALU_DEP_2) | instskip(NEXT) | instid1(VALU_DEP_3)
	v_mul_f32_e32 v57, 0xbf65296c, v58
	v_fma_f32 v124, 0x3ee437d1, v56, -v59
	s_delay_alu instid0(VALU_DEP_3) | instskip(SKIP_1) | instid1(VALU_DEP_4)
	v_add_f32_e32 v4, v52, v4
	v_fmac_f32_e32 v59, 0x3ee437d1, v56
	v_fmamk_f32 v52, v55, 0x3ee437d1, v57
	s_delay_alu instid0(VALU_DEP_4) | instskip(SKIP_4) | instid1(VALU_DEP_4)
	v_add_f32_e32 v10, v124, v10
	v_fma_f32 v124, 0xbf1a4643, v56, -v8
	v_fma_f32 v57, 0x3ee437d1, v55, -v57
	v_add_f32_e32 v9, v59, v9
	v_dual_add_f32 v5, v52, v5 :: v_dual_mul_f32 v52, 0xbf4c4adb, v58
	v_add_f32_e32 v12, v124, v12
	s_delay_alu instid0(VALU_DEP_4) | instskip(SKIP_1) | instid1(VALU_DEP_4)
	v_dual_mul_f32 v124, 0x3e3c28d5, v58 :: v_dual_add_f32 v11, v57, v11
	v_mul_f32_e32 v57, 0x3e3c28d5, v51
	v_fmamk_f32 v59, v55, 0xbf1a4643, v52
	v_fma_f32 v52, 0xbf1a4643, v55, -v52
	s_delay_alu instid0(VALU_DEP_2) | instskip(SKIP_1) | instid1(VALU_DEP_1)
	v_add_f32_e32 v32, v59, v32
	v_fma_f32 v59, 0xbf7ba420, v55, -v124
	v_dual_add_f32 v35, v59, v35 :: v_dual_fmac_f32 v8, 0xbf1a4643, v56
	v_fma_f32 v125, 0xbf7ba420, v56, -v57
	v_fmac_f32_e32 v57, 0xbf7ba420, v56
	s_delay_alu instid0(VALU_DEP_2) | instskip(NEXT) | instid1(VALU_DEP_2)
	v_add_f32_e32 v33, v125, v33
	v_add_f32_e32 v15, v57, v15
	v_dual_mul_f32 v57, 0x3f2c7751, v51 :: v_dual_add_f32 v6, v8, v6
	v_dual_add_f32 v8, v52, v13 :: v_dual_fmamk_f32 v13, v55, 0xbf7ba420, v124
	s_delay_alu instid0(VALU_DEP_1) | instskip(SKIP_1) | instid1(VALU_DEP_2)
	v_dual_mul_f32 v52, 0x3f763a35, v51 :: v_dual_add_f32 v13, v13, v34
	v_mul_f32_e32 v34, 0x3f763a35, v58
	v_fma_f32 v124, 0xbe8c1d8e, v56, -v52
	v_fmac_f32_e32 v52, 0xbe8c1d8e, v56
	s_delay_alu instid0(VALU_DEP_2) | instskip(SKIP_3) | instid1(VALU_DEP_4)
	v_dual_fmamk_f32 v59, v55, 0xbe8c1d8e, v34 :: v_dual_add_f32 v36, v124, v36
	v_fma_f32 v34, 0xbe8c1d8e, v55, -v34
	v_fma_f32 v124, 0x3f3d2fb0, v56, -v57
	v_fmac_f32_e32 v57, 0x3f3d2fb0, v56
	v_add_f32_e32 v37, v59, v37
	v_mul_f32_e32 v59, 0x3f2c7751, v58
	v_add_f32_e32 v34, v34, v38
	v_add_f32_e32 v38, v124, v41
	v_mul_f32_e32 v124, 0xbeb8f4ab, v58
	v_dual_add_f32 v40, v57, v40 :: v_dual_mul_f32 v57, 0xbf7ee86f, v51
	v_add_f32_e32 v14, v52, v14
	v_fmamk_f32 v52, v55, 0x3f3d2fb0, v59
	v_mul_f32_e32 v41, 0xbeb8f4ab, v51
	v_fma_f32 v59, 0x3f3d2fb0, v55, -v59
	s_delay_alu instid0(VALU_DEP_3) | instskip(NEXT) | instid1(VALU_DEP_3)
	v_dual_add_f32 v39, v52, v39 :: v_dual_fmamk_f32 v52, v55, 0x3f6eb680, v124
	v_fma_f32 v125, 0x3f6eb680, v56, -v41
	s_delay_alu instid0(VALU_DEP_3) | instskip(SKIP_1) | instid1(VALU_DEP_4)
	v_dual_add_f32 v42, v59, v42 :: v_dual_fmac_f32 v41, 0x3f6eb680, v56
	v_fma_f32 v59, 0x3f6eb680, v55, -v124
	v_add_f32_e32 v46, v52, v46
	v_mul_f32_e32 v52, 0xbf7ee86f, v58
	v_fma_f32 v124, 0x3dbcf732, v56, -v57
	v_add_f32_e32 v41, v41, v45
	v_add_f32_e32 v45, v59, v47
	v_mul_f32_e32 v47, 0xbf06c442, v51
	v_fmamk_f32 v51, v55, 0x3dbcf732, v52
	v_fmac_f32_e32 v57, 0x3dbcf732, v56
	v_fma_f32 v52, 0x3dbcf732, v55, -v52
	s_delay_alu instid0(VALU_DEP_4) | instskip(NEXT) | instid1(VALU_DEP_4)
	v_fma_f32 v59, 0xbf59a7d5, v56, -v47
	v_add_f32_e32 v49, v51, v49
	v_mul_f32_e32 v51, 0xbf06c442, v58
	s_delay_alu instid0(VALU_DEP_4) | instskip(SKIP_1) | instid1(VALU_DEP_3)
	v_dual_add_f32 v43, v57, v43 :: v_dual_add_f32 v50, v52, v50
	v_fmac_f32_e32 v47, 0xbf59a7d5, v56
	v_fmamk_f32 v57, v55, 0xbf59a7d5, v51
	v_fma_f32 v51, 0xbf59a7d5, v55, -v51
	v_add_f32_e32 v55, v243, v181
	v_sub_f32_e32 v56, v180, v173
	v_add_f32_e32 v58, v180, v173
	v_add_f32_e32 v52, v59, v53
	v_dual_sub_f32 v53, v243, v181 :: v_dual_add_f32 v54, v57, v54
	v_add_f32_e32 v4, v47, v4
	v_add_f32_e32 v7, v51, v7
	;; [unrolled: 1-line block ×3, first 2 shown]
	s_delay_alu instid0(VALU_DEP_4) | instskip(SKIP_2) | instid1(VALU_DEP_3)
	v_dual_mul_f32 v59, 0xbf7ee86f, v53 :: v_dual_add_f32 v48, v124, v48
	v_mul_f32_e32 v124, 0xbf7ee86f, v56
	v_dual_add_f32 v44, v125, v44 :: v_dual_mul_f32 v51, 0xbe3c28d5, v53
	v_fma_f32 v57, 0x3dbcf732, v58, -v59
	s_delay_alu instid0(VALU_DEP_1) | instskip(SKIP_1) | instid1(VALU_DEP_2)
	v_dual_fmamk_f32 v47, v55, 0x3dbcf732, v124 :: v_dual_add_f32 v10, v57, v10
	v_fma_f32 v57, 0x3dbcf732, v55, -v124
	v_add_f32_e32 v5, v47, v5
	v_fma_f32 v47, 0xbf7ba420, v58, -v51
	s_delay_alu instid0(VALU_DEP_3) | instskip(NEXT) | instid1(VALU_DEP_2)
	v_dual_mul_f32 v124, 0xbe3c28d5, v56 :: v_dual_add_f32 v11, v57, v11
	v_dual_mul_f32 v57, 0x3f763a35, v53 :: v_dual_add_f32 v12, v47, v12
	s_delay_alu instid0(VALU_DEP_2) | instskip(SKIP_2) | instid1(VALU_DEP_3)
	v_fmamk_f32 v47, v55, 0xbf7ba420, v124
	v_mul_f32_e32 v125, 0x3f763a35, v56
	v_fmac_f32_e32 v59, 0x3dbcf732, v58
	v_dual_fmac_f32 v51, 0xbf7ba420, v58 :: v_dual_add_f32 v32, v47, v32
	s_delay_alu instid0(VALU_DEP_3) | instskip(NEXT) | instid1(VALU_DEP_3)
	v_fmamk_f32 v47, v55, 0xbe8c1d8e, v125
	v_add_f32_e32 v9, v59, v9
	v_fma_f32 v59, 0xbf7ba420, v55, -v124
	v_fma_f32 v124, 0xbe8c1d8e, v58, -v57
	v_fmac_f32_e32 v57, 0xbe8c1d8e, v58
	v_add_f32_e32 v13, v47, v13
	s_delay_alu instid0(VALU_DEP_3) | instskip(NEXT) | instid1(VALU_DEP_3)
	v_dual_add_f32 v33, v124, v33 :: v_dual_mul_f32 v124, 0x3eb8f4ab, v56
	v_add_f32_e32 v15, v57, v15
	s_delay_alu instid0(VALU_DEP_2) | instskip(SKIP_3) | instid1(VALU_DEP_4)
	v_fmamk_f32 v57, v55, 0x3f6eb680, v124
	v_dual_add_f32 v6, v51, v6 :: v_dual_mul_f32 v51, 0x3eb8f4ab, v53
	v_add_f32_e32 v8, v59, v8
	v_fma_f32 v59, 0xbe8c1d8e, v55, -v125
	v_add_f32_e32 v37, v57, v37
	v_mul_f32_e32 v125, 0xbf06c442, v56
	v_fma_f32 v47, 0x3f6eb680, v58, -v51
	v_fmac_f32_e32 v51, 0x3f6eb680, v58
	v_add_f32_e32 v35, v59, v35
	s_delay_alu instid0(VALU_DEP_3) | instskip(SKIP_2) | instid1(VALU_DEP_3)
	v_dual_mul_f32 v59, 0xbf65296c, v53 :: v_dual_add_f32 v36, v47, v36
	v_fma_f32 v47, 0x3f6eb680, v55, -v124
	v_mul_f32_e32 v124, 0xbf65296c, v56
	v_fma_f32 v57, 0x3ee437d1, v58, -v59
	v_add_f32_e32 v14, v51, v14
	s_delay_alu instid0(VALU_DEP_4) | instskip(NEXT) | instid1(VALU_DEP_3)
	v_dual_add_f32 v34, v47, v34 :: v_dual_mul_f32 v47, 0xbf06c442, v53
	v_dual_add_f32 v38, v57, v38 :: v_dual_fmamk_f32 v51, v55, 0x3ee437d1, v124
	v_fma_f32 v57, 0x3ee437d1, v55, -v124
	s_delay_alu instid0(VALU_DEP_3) | instskip(SKIP_1) | instid1(VALU_DEP_3)
	v_fma_f32 v124, 0xbf59a7d5, v58, -v47
	v_fmac_f32_e32 v47, 0xbf59a7d5, v58
	v_dual_add_f32 v39, v51, v39 :: v_dual_add_f32 v42, v57, v42
	v_fmamk_f32 v51, v55, 0xbf59a7d5, v125
	s_delay_alu instid0(VALU_DEP_4) | instskip(SKIP_2) | instid1(VALU_DEP_4)
	v_dual_mul_f32 v57, 0x3f4c4adb, v53 :: v_dual_add_f32 v44, v124, v44
	v_fma_f32 v124, 0xbf59a7d5, v55, -v125
	v_add_f32_e32 v41, v47, v41
	v_add_f32_e32 v46, v51, v46
	s_delay_alu instid0(VALU_DEP_4)
	v_fma_f32 v51, 0xbf1a4643, v58, -v57
	v_fmac_f32_e32 v59, 0x3ee437d1, v58
	v_mul_f32_e32 v53, 0x3f2c7751, v53
	v_add_f32_e32 v45, v124, v45
	v_sub_f32_e32 v124, v176, v171
	v_add_f32_e32 v48, v51, v48
	v_add_f32_e32 v40, v59, v40
	v_mul_f32_e32 v59, 0x3f4c4adb, v56
	v_mul_f32_e32 v56, 0x3f2c7751, v56
	v_fma_f32 v51, 0x3f3d2fb0, v58, -v53
	v_fmac_f32_e32 v57, 0xbf1a4643, v58
	v_fmac_f32_e32 v53, 0x3f3d2fb0, v58
	v_fmamk_f32 v47, v55, 0xbf1a4643, v59
	v_mul_f32_e32 v125, 0xbf763a35, v124
	s_delay_alu instid0(VALU_DEP_2) | instskip(SKIP_1) | instid1(VALU_DEP_1)
	v_add_f32_e32 v47, v47, v49
	v_fma_f32 v49, 0xbf1a4643, v55, -v59
	v_dual_add_f32 v49, v49, v50 :: v_dual_add_f32 v50, v51, v52
	v_add_f32_e32 v43, v57, v43
	v_dual_sub_f32 v57, v242, v185 :: v_dual_add_f32 v52, v176, v171
	s_delay_alu instid0(VALU_DEP_1) | instskip(NEXT) | instid1(VALU_DEP_1)
	v_mul_f32_e32 v59, 0xbf763a35, v57
	v_fma_f32 v58, 0xbe8c1d8e, v52, -v59
	v_fmamk_f32 v51, v55, 0x3f3d2fb0, v56
	v_fma_f32 v55, 0x3f3d2fb0, v55, -v56
	v_add_f32_e32 v56, v242, v185
	v_add_f32_e32 v242, v209, v3
	;; [unrolled: 1-line block ×3, first 2 shown]
	s_delay_alu instid0(VALU_DEP_4) | instskip(NEXT) | instid1(VALU_DEP_4)
	v_dual_mul_f32 v58, 0x3f06c442, v124 :: v_dual_add_f32 v7, v55, v7
	v_fma_f32 v55, 0xbe8c1d8e, v56, -v125
	v_dual_add_f32 v51, v51, v54 :: v_dual_mul_f32 v54, 0x3f06c442, v57
	s_delay_alu instid0(VALU_DEP_2) | instskip(NEXT) | instid1(VALU_DEP_4)
	v_add_f32_e32 v11, v55, v11
	v_fmamk_f32 v55, v56, 0xbf59a7d5, v58
	s_delay_alu instid0(VALU_DEP_1) | instskip(SKIP_2) | instid1(VALU_DEP_2)
	v_add_f32_e32 v32, v55, v32
	v_dual_add_f32 v4, v53, v4 :: v_dual_fmamk_f32 v53, v56, 0xbe8c1d8e, v125
	v_mul_f32_e32 v125, 0xbf65296c, v124
	v_add_f32_e32 v5, v53, v5
	v_fma_f32 v53, 0xbf59a7d5, v52, -v54
	v_fmac_f32_e32 v54, 0xbf59a7d5, v52
	s_delay_alu instid0(VALU_DEP_2) | instskip(SKIP_3) | instid1(VALU_DEP_3)
	v_add_f32_e32 v12, v53, v12
	v_fmac_f32_e32 v59, 0xbe8c1d8e, v52
	v_fma_f32 v53, 0xbf59a7d5, v56, -v58
	v_mul_f32_e32 v58, 0x3f2c7751, v124
	v_dual_add_f32 v6, v54, v6 :: v_dual_add_f32 v9, v59, v9
	s_delay_alu instid0(VALU_DEP_3) | instskip(NEXT) | instid1(VALU_DEP_3)
	v_dual_add_f32 v8, v53, v8 :: v_dual_mul_f32 v59, 0x3f2c7751, v57
	v_fmamk_f32 v54, v56, 0x3f3d2fb0, v58
	s_delay_alu instid0(VALU_DEP_2) | instskip(NEXT) | instid1(VALU_DEP_2)
	v_fma_f32 v55, 0x3f3d2fb0, v52, -v59
	v_dual_add_f32 v13, v54, v13 :: v_dual_fmamk_f32 v54, v56, 0x3ee437d1, v125
	s_delay_alu instid0(VALU_DEP_2) | instskip(SKIP_1) | instid1(VALU_DEP_3)
	v_add_f32_e32 v33, v55, v33
	v_fma_f32 v55, 0x3f3d2fb0, v56, -v58
	v_add_f32_e32 v37, v54, v37
	s_delay_alu instid0(VALU_DEP_2) | instskip(SKIP_1) | instid1(VALU_DEP_1)
	v_add_f32_e32 v35, v55, v35
	v_mul_f32_e32 v55, 0xbe3c28d5, v57
	v_fma_f32 v54, 0xbf7ba420, v52, -v55
	v_fmac_f32_e32 v55, 0xbf7ba420, v52
	s_delay_alu instid0(VALU_DEP_2) | instskip(NEXT) | instid1(VALU_DEP_2)
	v_dual_mul_f32 v53, 0xbf65296c, v57 :: v_dual_add_f32 v38, v54, v38
	v_add_f32_e32 v40, v55, v40
	v_fmac_f32_e32 v59, 0x3f3d2fb0, v52
	s_delay_alu instid0(VALU_DEP_3) | instskip(SKIP_1) | instid1(VALU_DEP_2)
	v_fma_f32 v58, 0x3ee437d1, v52, -v53
	v_fmac_f32_e32 v53, 0x3ee437d1, v52
	v_dual_add_f32 v15, v59, v15 :: v_dual_add_f32 v36, v58, v36
	v_fma_f32 v58, 0x3ee437d1, v56, -v125
	s_delay_alu instid0(VALU_DEP_3) | instskip(NEXT) | instid1(VALU_DEP_2)
	v_dual_mul_f32 v59, 0xbe3c28d5, v124 :: v_dual_add_f32 v14, v53, v14
	v_dual_mul_f32 v125, 0xbeb8f4ab, v124 :: v_dual_add_f32 v34, v58, v34
	s_delay_alu instid0(VALU_DEP_2) | instskip(SKIP_2) | instid1(VALU_DEP_1)
	v_fmamk_f32 v53, v56, 0xbf7ba420, v59
	v_mul_f32_e32 v58, 0x3f7ee86f, v57
	v_fma_f32 v54, 0xbf7ba420, v56, -v59
	v_dual_mul_f32 v59, 0x3f7ee86f, v124 :: v_dual_add_f32 v42, v54, v42
	s_delay_alu instid0(VALU_DEP_4) | instskip(NEXT) | instid1(VALU_DEP_4)
	v_dual_mul_f32 v54, 0xbeb8f4ab, v57 :: v_dual_add_f32 v39, v53, v39
	v_fma_f32 v53, 0x3dbcf732, v52, -v58
	s_delay_alu instid0(VALU_DEP_3) | instskip(SKIP_1) | instid1(VALU_DEP_3)
	v_fma_f32 v55, 0x3dbcf732, v56, -v59
	v_fmac_f32_e32 v58, 0x3dbcf732, v52
	v_dual_add_f32 v44, v53, v44 :: v_dual_fmamk_f32 v53, v56, 0x3dbcf732, v59
	v_fma_f32 v59, 0x3f6eb680, v52, -v54
	s_delay_alu instid0(VALU_DEP_4) | instskip(SKIP_1) | instid1(VALU_DEP_4)
	v_add_f32_e32 v45, v55, v45
	v_mul_f32_e32 v55, 0xbf4c4adb, v57
	v_dual_mul_f32 v57, 0xbf4c4adb, v124 :: v_dual_add_f32 v46, v53, v46
	v_dual_fmamk_f32 v53, v56, 0x3f6eb680, v125 :: v_dual_fmac_f32 v54, 0x3f6eb680, v52
	v_dual_add_f32 v41, v58, v41 :: v_dual_add_f32 v48, v59, v48
	v_fma_f32 v58, 0x3f6eb680, v56, -v125
	s_delay_alu instid0(VALU_DEP_4) | instskip(NEXT) | instid1(VALU_DEP_4)
	v_fmamk_f32 v59, v56, 0xbf1a4643, v57
	v_dual_add_f32 v43, v54, v43 :: v_dual_sub_f32 v54, v0, v184
	v_add_f32_e32 v47, v53, v47
	v_fma_f32 v53, 0xbf1a4643, v52, -v55
	v_fmac_f32_e32 v55, 0xbf1a4643, v52
	v_fma_f32 v52, 0xbf1a4643, v56, -v57
	v_dual_add_f32 v56, v0, v184 :: v_dual_add_f32 v49, v58, v49
	s_delay_alu instid0(VALU_DEP_4) | instskip(SKIP_4) | instid1(VALU_DEP_3)
	v_add_f32_e32 v50, v53, v50
	v_add_f32_e32 v53, v172, v170
	v_dual_sub_f32 v58, v172, v170 :: v_dual_add_f32 v51, v59, v51
	v_mul_f32_e32 v59, 0xbf4c4adb, v54
	v_dual_add_f32 v7, v52, v7 :: v_dual_mul_f32 v52, 0x3f763a35, v54
	v_dual_mul_f32 v57, 0xbf4c4adb, v58 :: v_dual_add_f32 v4, v55, v4
	s_delay_alu instid0(VALU_DEP_3)
	v_fma_f32 v124, 0xbf1a4643, v53, -v59
	v_fmac_f32_e32 v59, 0xbf1a4643, v53
	scratch_load_b32 v0, off, off offset:480 ; 4-byte Folded Reload
	v_fmamk_f32 v55, v56, 0xbf1a4643, v57
	v_fma_f32 v57, 0xbf1a4643, v56, -v57
	v_add_f32_e32 v10, v124, v10
	v_fma_f32 v124, 0xbe8c1d8e, v53, -v52
	v_fmac_f32_e32 v52, 0xbe8c1d8e, v53
	v_add_f32_e32 v5, v55, v5
	v_mul_f32_e32 v55, 0x3f763a35, v58
	s_delay_alu instid0(VALU_DEP_4) | instskip(SKIP_2) | instid1(VALU_DEP_4)
	v_dual_add_f32 v9, v59, v9 :: v_dual_add_f32 v12, v124, v12
	v_mul_f32_e32 v124, 0xbeb8f4ab, v58
	v_add_f32_e32 v6, v52, v6
	v_fmamk_f32 v59, v56, 0xbe8c1d8e, v55
	v_fma_f32 v55, 0xbe8c1d8e, v56, -v55
	s_delay_alu instid0(VALU_DEP_4) | instskip(NEXT) | instid1(VALU_DEP_3)
	v_fmamk_f32 v52, v56, 0x3f6eb680, v124
	v_add_f32_e32 v32, v59, v32
	v_fma_f32 v59, 0x3f6eb680, v56, -v124
	s_delay_alu instid0(VALU_DEP_3) | instskip(SKIP_2) | instid1(VALU_DEP_4)
	v_dual_add_f32 v8, v55, v8 :: v_dual_add_f32 v13, v52, v13
	v_mul_f32_e32 v52, 0xbf06c442, v58
	v_mul_f32_e32 v55, 0xbf06c442, v54
	v_add_f32_e32 v35, v59, v35
	s_delay_alu instid0(VALU_DEP_3) | instskip(SKIP_1) | instid1(VALU_DEP_1)
	v_fmamk_f32 v59, v56, 0xbf59a7d5, v52
	v_fma_f32 v52, 0xbf59a7d5, v56, -v52
	v_dual_add_f32 v37, v59, v37 :: v_dual_add_f32 v34, v52, v34
	v_dual_mul_f32 v52, 0xbf2c7751, v54 :: v_dual_add_f32 v11, v57, v11
	v_mul_f32_e32 v57, 0xbeb8f4ab, v54
	v_mul_f32_e32 v59, 0x3f7ee86f, v58
	s_delay_alu instid0(VALU_DEP_2) | instskip(NEXT) | instid1(VALU_DEP_1)
	v_fma_f32 v125, 0x3f6eb680, v53, -v57
	v_add_f32_e32 v33, v125, v33
	v_fma_f32 v125, 0x3f3d2fb0, v53, -v52
	s_delay_alu instid0(VALU_DEP_1) | instskip(SKIP_3) | instid1(VALU_DEP_3)
	v_dual_add_f32 v44, v125, v44 :: v_dual_fmac_f32 v57, 0x3f6eb680, v53
	v_fmac_f32_e32 v52, 0x3f3d2fb0, v53
	v_fma_f32 v124, 0xbf59a7d5, v53, -v55
	v_fmac_f32_e32 v55, 0xbf59a7d5, v53
	v_dual_add_f32 v41, v52, v41 :: v_dual_mul_f32 v52, 0x3f65296c, v54
	v_add_f32_e32 v15, v57, v15
	s_delay_alu instid0(VALU_DEP_4) | instskip(NEXT) | instid1(VALU_DEP_4)
	v_dual_mul_f32 v57, 0x3f7ee86f, v54 :: v_dual_add_f32 v36, v124, v36
	v_dual_add_f32 v14, v55, v14 :: v_dual_fmamk_f32 v55, v56, 0x3dbcf732, v59
	v_fma_f32 v59, 0x3dbcf732, v56, -v59
	s_delay_alu instid0(VALU_DEP_3) | instskip(SKIP_1) | instid1(VALU_DEP_4)
	v_fma_f32 v124, 0x3dbcf732, v53, -v57
	v_fmac_f32_e32 v57, 0x3dbcf732, v53
	v_add_f32_e32 v39, v55, v39
	s_delay_alu instid0(VALU_DEP_4) | instskip(NEXT) | instid1(VALU_DEP_4)
	v_add_f32_e32 v42, v59, v42
	v_add_f32_e32 v38, v124, v38
	v_mul_f32_e32 v124, 0xbf2c7751, v58
	v_dual_add_f32 v40, v57, v40 :: v_dual_mul_f32 v57, 0xbe3c28d5, v54
	s_delay_alu instid0(VALU_DEP_2) | instskip(SKIP_1) | instid1(VALU_DEP_3)
	v_fmamk_f32 v55, v56, 0x3f3d2fb0, v124
	v_fma_f32 v59, 0x3f3d2fb0, v56, -v124
	v_fma_f32 v124, 0xbf7ba420, v53, -v57
	s_delay_alu instid0(VALU_DEP_3) | instskip(NEXT) | instid1(VALU_DEP_2)
	v_dual_fmac_f32 v57, 0xbf7ba420, v53 :: v_dual_add_f32 v46, v55, v46
	v_dual_mul_f32 v55, 0xbe3c28d5, v58 :: v_dual_add_f32 v48, v124, v48
	s_delay_alu instid0(VALU_DEP_1) | instskip(SKIP_1) | instid1(VALU_DEP_2)
	v_dual_add_f32 v43, v57, v43 :: v_dual_fmamk_f32 v54, v56, 0xbf7ba420, v55
	v_fma_f32 v55, 0xbf7ba420, v56, -v55
	v_dual_add_f32 v47, v54, v47 :: v_dual_mul_f32 v54, 0x3f65296c, v58
	s_delay_alu instid0(VALU_DEP_2) | instskip(SKIP_2) | instid1(VALU_DEP_4)
	v_add_f32_e32 v49, v55, v49
	v_add_f32_e32 v58, v168, v169
	v_sub_f32_e32 v55, v193, v189
	v_fmamk_f32 v57, v56, 0x3ee437d1, v54
	v_fma_f32 v54, 0x3ee437d1, v56, -v54
	v_add_f32_e32 v56, v193, v189
	v_add_f32_e32 v45, v59, v45
	v_fma_f32 v59, 0x3ee437d1, v53, -v52
	v_fmac_f32_e32 v52, 0x3ee437d1, v53
	v_sub_f32_e32 v53, v168, v169
	v_add_f32_e32 v51, v57, v51
	s_delay_alu instid0(VALU_DEP_4) | instskip(NEXT) | instid1(VALU_DEP_3)
	v_dual_add_f32 v7, v54, v7 :: v_dual_add_f32 v50, v59, v50
	v_dual_mul_f32 v59, 0xbf06c442, v55 :: v_dual_mul_f32 v124, 0xbf06c442, v53
	v_add_f32_e32 v4, v52, v4
	v_mul_f32_e32 v54, 0x3f65296c, v55
	v_mul_f32_e32 v125, 0xbf7ee86f, v53
	s_delay_alu instid0(VALU_DEP_4) | instskip(SKIP_1) | instid1(VALU_DEP_2)
	v_fma_f32 v57, 0xbf59a7d5, v58, -v59
	v_dual_fmamk_f32 v52, v56, 0xbf59a7d5, v124 :: v_dual_fmac_f32 v59, 0xbf59a7d5, v58
	v_add_f32_e32 v10, v57, v10
	v_fma_f32 v57, 0xbf59a7d5, v56, -v124
	s_delay_alu instid0(VALU_DEP_3) | instskip(SKIP_2) | instid1(VALU_DEP_4)
	v_add_f32_e32 v5, v52, v5
	v_fma_f32 v52, 0x3ee437d1, v58, -v54
	v_mul_f32_e32 v124, 0x3f65296c, v53
	v_dual_fmac_f32 v54, 0x3ee437d1, v58 :: v_dual_add_f32 v11, v57, v11
	s_delay_alu instid0(VALU_DEP_3) | instskip(NEXT) | instid1(VALU_DEP_3)
	v_dual_add_f32 v9, v59, v9 :: v_dual_add_f32 v12, v52, v12
	v_fmamk_f32 v52, v56, 0x3ee437d1, v124
	s_delay_alu instid0(VALU_DEP_3) | instskip(SKIP_2) | instid1(VALU_DEP_4)
	v_add_f32_e32 v6, v54, v6
	v_mul_f32_e32 v54, 0x3f4c4adb, v55
	v_fma_f32 v59, 0x3ee437d1, v56, -v124
	v_add_f32_e32 v32, v52, v32
	v_fmamk_f32 v52, v56, 0x3dbcf732, v125
	s_delay_alu instid0(VALU_DEP_3) | instskip(SKIP_1) | instid1(VALU_DEP_3)
	v_add_f32_e32 v8, v59, v8
	v_fma_f32 v59, 0x3dbcf732, v56, -v125
	v_add_f32_e32 v13, v52, v13
	v_fma_f32 v52, 0xbf1a4643, v58, -v54
	v_fmac_f32_e32 v54, 0xbf1a4643, v58
	v_mul_f32_e32 v57, 0xbf7ee86f, v55
	v_add_f32_e32 v35, v59, v35
	s_delay_alu instid0(VALU_DEP_4) | instskip(NEXT) | instid1(VALU_DEP_4)
	v_dual_mul_f32 v59, 0xbeb8f4ab, v55 :: v_dual_add_f32 v36, v52, v36
	v_add_f32_e32 v14, v54, v14
	s_delay_alu instid0(VALU_DEP_4) | instskip(SKIP_1) | instid1(VALU_DEP_2)
	v_fma_f32 v124, 0x3dbcf732, v58, -v57
	v_fmac_f32_e32 v57, 0x3dbcf732, v58
	v_add_f32_e32 v33, v124, v33
	s_delay_alu instid0(VALU_DEP_2) | instskip(NEXT) | instid1(VALU_DEP_1)
	v_dual_mul_f32 v124, 0x3f4c4adb, v53 :: v_dual_add_f32 v15, v57, v15
	v_fmamk_f32 v57, v56, 0xbf1a4643, v124
	v_fma_f32 v52, 0xbf1a4643, v56, -v124
	s_delay_alu instid0(VALU_DEP_2) | instskip(SKIP_1) | instid1(VALU_DEP_3)
	v_add_f32_e32 v37, v57, v37
	v_fma_f32 v57, 0x3f6eb680, v58, -v59
	v_add_f32_e32 v34, v52, v34
	v_mul_f32_e32 v52, 0xbe3c28d5, v55
	s_delay_alu instid0(VALU_DEP_3) | instskip(SKIP_2) | instid1(VALU_DEP_2)
	v_add_f32_e32 v38, v57, v38
	v_mul_f32_e32 v124, 0xbeb8f4ab, v53
	v_mul_f32_e32 v125, 0xbe3c28d5, v53
	v_fmamk_f32 v54, v56, 0x3f6eb680, v124
	v_fma_f32 v57, 0x3f6eb680, v56, -v124
	v_fma_f32 v124, 0xbf7ba420, v58, -v52
	s_delay_alu instid0(VALU_DEP_3) | instskip(NEXT) | instid1(VALU_DEP_3)
	v_dual_fmac_f32 v52, 0xbf7ba420, v58 :: v_dual_add_f32 v39, v54, v39
	v_add_f32_e32 v42, v57, v42
	v_fmamk_f32 v54, v56, 0xbf7ba420, v125
	s_delay_alu instid0(VALU_DEP_4) | instskip(SKIP_2) | instid1(VALU_DEP_4)
	v_dual_mul_f32 v57, 0x3f2c7751, v55 :: v_dual_add_f32 v44, v124, v44
	v_mul_f32_e32 v124, 0x3f2c7751, v53
	v_fmac_f32_e32 v59, 0x3f6eb680, v58
	v_add_f32_e32 v46, v54, v46
	s_delay_alu instid0(VALU_DEP_4) | instskip(NEXT) | instid1(VALU_DEP_3)
	v_fma_f32 v54, 0x3f3d2fb0, v58, -v57
	v_dual_mul_f32 v53, 0xbf763a35, v53 :: v_dual_add_f32 v40, v59, v40
	v_fma_f32 v59, 0xbf7ba420, v56, -v125
	s_delay_alu instid0(VALU_DEP_3) | instskip(SKIP_1) | instid1(VALU_DEP_1)
	v_add_f32_e32 v48, v54, v48
	v_fma_f32 v54, 0x3f3d2fb0, v56, -v124
	v_dual_add_f32 v49, v54, v49 :: v_dual_sub_f32 v54, v192, v188
	v_add_f32_e32 v41, v52, v41
	v_dual_fmamk_f32 v52, v56, 0x3f3d2fb0, v124 :: v_dual_fmac_f32 v57, 0x3f3d2fb0, v58
	s_delay_alu instid0(VALU_DEP_3) | instskip(SKIP_1) | instid1(VALU_DEP_3)
	v_mul_f32_e32 v124, 0xbe3c28d5, v54
	v_mul_f32_e32 v55, 0xbf763a35, v55
	v_add_f32_e32 v43, v57, v43
	v_add_f32_e32 v57, v140, v141
	;; [unrolled: 1-line block ×3, first 2 shown]
	s_delay_alu instid0(VALU_DEP_4) | instskip(SKIP_1) | instid1(VALU_DEP_2)
	v_fma_f32 v52, 0xbe8c1d8e, v58, -v55
	v_fmac_f32_e32 v55, 0xbe8c1d8e, v58
	v_add_f32_e32 v50, v52, v50
	v_fmamk_f32 v52, v56, 0xbe8c1d8e, v53
	v_fma_f32 v53, 0xbe8c1d8e, v56, -v53
	v_dual_add_f32 v56, v192, v188 :: v_dual_add_f32 v45, v59, v45
	v_sub_f32_e32 v59, v140, v141
	s_delay_alu instid0(VALU_DEP_4) | instskip(NEXT) | instid1(VALU_DEP_4)
	v_add_f32_e32 v51, v52, v51
	v_add_f32_e32 v7, v53, v7
	s_delay_alu instid0(VALU_DEP_3) | instskip(NEXT) | instid1(VALU_DEP_1)
	v_mul_f32_e32 v58, 0xbe3c28d5, v59
	v_fmamk_f32 v52, v56, 0xbf7ba420, v58
	v_fma_f32 v53, 0xbf7ba420, v56, -v58
	v_sub_f32_e32 v58, v70, v21
	s_delay_alu instid0(VALU_DEP_3) | instskip(SKIP_1) | instid1(VALU_DEP_4)
	v_add_f32_e32 v197, v52, v5
	v_mul_f32_e32 v5, 0x3eb8f4ab, v59
	v_add_f32_e32 v141, v53, v11
	s_delay_alu instid0(VALU_DEP_4) | instskip(NEXT) | instid1(VALU_DEP_3)
	v_dual_sub_f32 v53, v68, v232 :: v_dual_mul_f32 v200, 0xbf06c442, v58
	v_fmamk_f32 v11, v56, 0x3f6eb680, v5
	v_fma_f32 v5, 0x3f6eb680, v56, -v5
	s_delay_alu instid0(VALU_DEP_2) | instskip(SKIP_1) | instid1(VALU_DEP_3)
	v_add_f32_e32 v193, v11, v32
	v_mul_f32_e32 v11, 0xbf06c442, v59
	v_add_f32_e32 v169, v5, v8
	v_mul_f32_e32 v5, 0x3f2c7751, v54
	s_delay_alu instid0(VALU_DEP_3) | instskip(NEXT) | instid1(VALU_DEP_1)
	v_fma_f32 v8, 0xbf59a7d5, v56, -v11
	v_dual_add_f32 v171, v8, v35 :: v_dual_mul_f32 v8, 0xbf4c4adb, v54
	v_fma_f32 v125, 0xbf7ba420, v57, -v124
	v_fmac_f32_e32 v124, 0xbf7ba420, v57
	s_delay_alu instid0(VALU_DEP_2) | instskip(SKIP_1) | instid1(VALU_DEP_3)
	v_dual_mul_f32 v35, 0xbf4c4adb, v53 :: v_dual_add_f32 v196, v125, v10
	v_mul_f32_e32 v10, 0x3eb8f4ab, v54
	v_dual_add_f32 v140, v124, v9 :: v_dual_mul_f32 v9, 0xbf06c442, v54
	v_dual_sub_f32 v125, v212, v219 :: v_dual_add_f32 v124, v29, v30
	s_delay_alu instid0(VALU_DEP_3) | instskip(SKIP_1) | instid1(VALU_DEP_3)
	v_fma_f32 v52, 0x3f6eb680, v57, -v10
	v_fmac_f32_e32 v10, 0x3f6eb680, v57
	v_fmamk_f32 v202, v124, 0xbf59a7d5, v200
	s_delay_alu instid0(VALU_DEP_3) | instskip(SKIP_1) | instid1(VALU_DEP_4)
	v_add_f32_e32 v192, v52, v12
	v_fma_f32 v12, 0xbf59a7d5, v57, -v9
	v_dual_add_f32 v168, v10, v6 :: v_dual_fmac_f32 v9, 0xbf59a7d5, v57
	s_delay_alu instid0(VALU_DEP_2)
	v_add_f32_e32 v194, v12, v33
	v_sub_f32_e32 v12, v237, v2
	v_fmamk_f32 v6, v56, 0xbf59a7d5, v11
	v_fma_f32 v11, 0x3f3d2fb0, v57, -v5
	v_dual_fmac_f32 v5, 0x3f3d2fb0, v57 :: v_dual_add_f32 v170, v9, v15
	v_add_f32_e32 v15, v237, v2
	s_delay_alu instid0(VALU_DEP_3) | instskip(NEXT) | instid1(VALU_DEP_3)
	v_dual_mul_f32 v251, 0xbf4c4adb, v58 :: v_dual_add_f32 v188, v11, v36
	v_add_f32_e32 v172, v5, v14
	v_dual_mul_f32 v10, 0x3f2c7751, v59 :: v_dual_add_f32 v195, v6, v13
	v_dual_mul_f32 v5, 0x3f65296c, v54 :: v_dual_sub_f32 v14, v236, v229
	v_add_f32_e32 v13, v236, v229
	s_delay_alu instid0(VALU_DEP_3) | instskip(SKIP_3) | instid1(VALU_DEP_4)
	v_fmamk_f32 v6, v56, 0x3f3d2fb0, v10
	v_fma_f32 v9, 0x3f3d2fb0, v56, -v10
	v_fma_f32 v10, 0xbf1a4643, v57, -v8
	v_fmac_f32_e32 v8, 0xbf1a4643, v57
	v_dual_add_f32 v189, v6, v37 :: v_dual_mul_f32 v6, 0xbf4c4adb, v59
	s_delay_alu instid0(VALU_DEP_4) | instskip(NEXT) | instid1(VALU_DEP_4)
	v_add_f32_e32 v173, v9, v34
	v_add_f32_e32 v190, v10, v38
	v_fma_f32 v10, 0x3ee437d1, v57, -v5
	v_add_f32_e32 v174, v8, v40
	v_fmamk_f32 v9, v56, 0xbf1a4643, v6
	v_fma_f32 v6, 0xbf1a4643, v56, -v6
	s_delay_alu instid0(VALU_DEP_4) | instskip(SKIP_1) | instid1(VALU_DEP_4)
	v_dual_fmac_f32 v5, 0x3ee437d1, v57 :: v_dual_add_f32 v184, v10, v44
	v_mul_f32_e32 v10, 0xbf763a35, v59
	v_add_f32_e32 v191, v9, v39
	v_mul_f32_e32 v9, 0x3f65296c, v59
	v_add_f32_e32 v175, v6, v42
	v_mul_f32_e32 v6, 0xbf763a35, v54
	v_dual_add_f32 v176, v5, v41 :: v_dual_fmamk_f32 v5, v56, 0xbe8c1d8e, v10
	s_delay_alu instid0(VALU_DEP_4) | instskip(SKIP_1) | instid1(VALU_DEP_4)
	v_fmamk_f32 v8, v56, 0x3ee437d1, v9
	v_add_f32_e32 v4, v55, v4
	v_fma_f32 v11, 0xbe8c1d8e, v57, -v6
	v_fmac_f32_e32 v6, 0xbe8c1d8e, v57
	v_fma_f32 v9, 0x3ee437d1, v56, -v9
	v_add_f32_e32 v185, v8, v46
	v_mul_f32_e32 v8, 0x3f7ee86f, v54
	v_add_f32_e32 v186, v11, v48
	v_add_f32_e32 v178, v6, v43
	v_dual_mul_f32 v6, 0xbeb8f4ab, v12 :: v_dual_add_f32 v187, v5, v47
	v_fma_f32 v5, 0xbe8c1d8e, v56, -v10
	v_fma_f32 v10, 0x3dbcf732, v57, -v8
	v_fmac_f32_e32 v8, 0x3dbcf732, v57
	v_add_f32_e32 v177, v9, v45
	v_sub_f32_e32 v57, v67, v233
	s_delay_alu instid0(VALU_DEP_4) | instskip(NEXT) | instid1(VALU_DEP_4)
	v_dual_add_f32 v179, v5, v49 :: v_dual_add_f32 v180, v10, v50
	v_add_f32_e32 v182, v8, v4
	v_mul_f32_e32 v8, 0xbf2c7751, v245
	v_mul_f32_e32 v4, 0xbeb8f4ab, v14
	;; [unrolled: 1-line block ×3, first 2 shown]
	v_dual_mul_f32 v41, 0xbf2c7751, v12 :: v_dual_mul_f32 v46, 0xbf2c7751, v14
	s_delay_alu instid0(VALU_DEP_4) | instskip(SKIP_4) | instid1(VALU_DEP_3)
	v_fma_f32 v10, 0x3f3d2fb0, v243, -v8
	v_fmac_f32_e32 v8, 0x3f3d2fb0, v243
	v_mul_f32_e32 v9, 0x3f7ee86f, v59
	v_add_f32_e32 v59, v70, v21
	v_fmamk_f32 v48, v242, 0x3dbcf732, v47
	v_fmamk_f32 v5, v56, 0x3dbcf732, v9
	s_delay_alu instid0(VALU_DEP_1) | instskip(SKIP_4) | instid1(VALU_DEP_2)
	v_add_f32_e32 v181, v5, v51
	v_fma_f32 v5, 0x3dbcf732, v56, -v9
	v_fma_f32 v9, 0x3f6eb680, v13, -v6
	v_fmac_f32_e32 v6, 0x3f6eb680, v13
	v_add_f32_e32 v56, v212, v219
	v_add_f32_e32 v6, v76, v6
	s_delay_alu instid0(VALU_DEP_1) | instskip(SKIP_4) | instid1(VALU_DEP_3)
	v_dual_add_f32 v6, v8, v6 :: v_dual_add_f32 v183, v5, v7
	v_add_f32_e32 v5, v76, v9
	v_fmamk_f32 v7, v15, 0x3f6eb680, v4
	v_mul_f32_e32 v9, 0xbf2c7751, v244
	v_fma_f32 v4, 0x3f6eb680, v15, -v4
	v_add_f32_e32 v7, v77, v7
	s_delay_alu instid0(VALU_DEP_2) | instskip(SKIP_1) | instid1(VALU_DEP_2)
	v_dual_fmamk_f32 v11, v242, 0x3f3d2fb0, v9 :: v_dual_add_f32 v4, v77, v4
	v_fma_f32 v9, 0x3f3d2fb0, v242, -v9
	v_add_f32_e32 v7, v11, v7
	s_delay_alu instid0(VALU_DEP_2) | instskip(SKIP_1) | instid1(VALU_DEP_2)
	v_dual_mul_f32 v11, 0xbf65296c, v225 :: v_dual_add_f32 v4, v9, v4
	v_mul_f32_e32 v9, 0xbf7ee86f, v127
	v_fmamk_f32 v8, v241, 0x3ee437d1, v11
	s_delay_alu instid0(VALU_DEP_1) | instskip(SKIP_1) | instid1(VALU_DEP_1)
	v_add_f32_e32 v7, v8, v7
	v_fma_f32 v8, 0x3ee437d1, v241, -v11
	v_dual_add_f32 v4, v8, v4 :: v_dual_add_f32 v5, v10, v5
	v_mul_f32_e32 v10, 0xbf65296c, v223
	s_delay_alu instid0(VALU_DEP_1) | instskip(SKIP_1) | instid1(VALU_DEP_1)
	v_fma_f32 v32, 0x3ee437d1, v224, -v10
	v_fmac_f32_e32 v10, 0x3ee437d1, v224
	v_add_f32_e32 v6, v10, v6
	v_mul_f32_e32 v10, 0xbf7ee86f, v221
	s_delay_alu instid0(VALU_DEP_1) | instskip(NEXT) | instid1(VALU_DEP_1)
	v_fmamk_f32 v8, v222, 0x3dbcf732, v10
	v_add_f32_e32 v7, v8, v7
	v_fma_f32 v8, 0x3dbcf732, v222, -v10
	s_delay_alu instid0(VALU_DEP_1) | instskip(SKIP_2) | instid1(VALU_DEP_3)
	v_dual_add_f32 v4, v8, v4 :: v_dual_add_f32 v203, v66, v17
	v_add_f32_e32 v5, v32, v5
	v_mul_f32_e32 v32, 0xbf763a35, v125
	v_fma_f32 v11, 0x3dbcf732, v203, -v9
	s_delay_alu instid0(VALU_DEP_2) | instskip(NEXT) | instid1(VALU_DEP_2)
	v_fma_f32 v10, 0xbe8c1d8e, v126, -v32
	v_dual_fmac_f32 v32, 0xbe8c1d8e, v126 :: v_dual_add_f32 v5, v11, v5
	v_mul_f32_e32 v11, 0xbf763a35, v57
	s_delay_alu instid0(VALU_DEP_2) | instskip(NEXT) | instid1(VALU_DEP_2)
	v_add_f32_e32 v5, v10, v5
	v_fma_f32 v8, 0xbe8c1d8e, v56, -v11
	v_fmamk_f32 v33, v56, 0xbe8c1d8e, v11
	v_dual_add_f32 v10, v68, v232 :: v_dual_add_f32 v11, v213, v239
	s_delay_alu instid0(VALU_DEP_3) | instskip(SKIP_1) | instid1(VALU_DEP_4)
	v_add_f32_e32 v36, v8, v4
	v_dual_sub_f32 v8, v69, v230 :: v_dual_fmac_f32 v9, 0x3dbcf732, v203
	v_add_f32_e32 v7, v33, v7
	s_delay_alu instid0(VALU_DEP_4) | instskip(SKIP_1) | instid1(VALU_DEP_4)
	v_dual_add_f32 v4, v69, v230 :: v_dual_fmamk_f32 v37, v11, 0xbf1a4643, v35
	v_fma_f32 v35, 0xbf1a4643, v11, -v35
	v_add_f32_e32 v6, v9, v6
	v_dual_sub_f32 v9, v213, v239 :: v_dual_mul_f32 v40, 0xbf06c442, v8
	s_delay_alu instid0(VALU_DEP_1) | instskip(SKIP_1) | instid1(VALU_DEP_2)
	v_dual_add_f32 v32, v32, v6 :: v_dual_mul_f32 v33, 0xbf4c4adb, v9
	v_sub_f32_e32 v6, v214, v31
	v_fma_f32 v34, 0xbf1a4643, v10, -v33
	s_delay_alu instid0(VALU_DEP_2) | instskip(SKIP_2) | instid1(VALU_DEP_4)
	v_mul_f32_e32 v38, 0xbf06c442, v6
	v_fmac_f32_e32 v33, 0xbf1a4643, v10
	v_mul_f32_e32 v44, 0x3f65296c, v6
	v_add_f32_e32 v34, v34, v5
	s_delay_alu instid0(VALU_DEP_4) | instskip(NEXT) | instid1(VALU_DEP_4)
	v_fma_f32 v39, 0xbf59a7d5, v4, -v38
	v_dual_add_f32 v5, v214, v31 :: v_dual_add_f32 v32, v33, v32
	v_add_f32_e32 v33, v35, v36
	v_fmac_f32_e32 v38, 0xbf59a7d5, v4
	s_delay_alu instid0(VALU_DEP_4) | instskip(SKIP_3) | instid1(VALU_DEP_3)
	v_dual_add_f32 v34, v39, v34 :: v_dual_add_f32 v37, v37, v7
	v_dual_mul_f32 v42, 0x3f06c442, v125 :: v_dual_sub_f32 v7, v29, v30
	v_fmamk_f32 v35, v5, 0xbf59a7d5, v40
	v_fma_f32 v36, 0xbf59a7d5, v5, -v40
	v_dual_mul_f32 v40, 0xbe3c28d5, v58 :: v_dual_mul_f32 v39, 0xbe3c28d5, v7
	s_delay_alu instid0(VALU_DEP_3) | instskip(NEXT) | instid1(VALU_DEP_3)
	v_add_f32_e32 v35, v35, v37
	v_dual_add_f32 v37, v38, v32 :: v_dual_add_f32 v36, v36, v33
	s_delay_alu instid0(VALU_DEP_3) | instskip(NEXT) | instid1(VALU_DEP_4)
	v_fmamk_f32 v33, v124, 0xbf7ba420, v40
	v_fma_f32 v32, 0xbf7ba420, v59, -v39
	v_fmac_f32_e32 v39, 0xbf7ba420, v59
	v_fma_f32 v40, 0xbf7ba420, v124, -v40
	v_mul_f32_e32 v43, 0x3f763a35, v9
	s_delay_alu instid0(VALU_DEP_4) | instskip(NEXT) | instid1(VALU_DEP_3)
	v_dual_add_f32 v33, v33, v35 :: v_dual_add_f32 v32, v32, v34
	v_dual_add_f32 v38, v39, v37 :: v_dual_add_f32 v39, v40, v36
	v_fma_f32 v34, 0x3f3d2fb0, v13, -v41
	v_mul_f32_e32 v36, 0xbf7ee86f, v245
	v_mul_f32_e32 v37, 0xbf4c4adb, v223
	;; [unrolled: 1-line block ×3, first 2 shown]
	s_delay_alu instid0(VALU_DEP_4) | instskip(NEXT) | instid1(VALU_DEP_4)
	v_dual_fmac_f32 v41, 0x3f3d2fb0, v13 :: v_dual_add_f32 v34, v76, v34
	v_fma_f32 v35, 0x3dbcf732, v243, -v36
	v_mul_f32_e32 v45, 0x3eb8f4ab, v7
	s_delay_alu instid0(VALU_DEP_3) | instskip(NEXT) | instid1(VALU_DEP_3)
	v_dual_fmac_f32 v36, 0x3dbcf732, v243 :: v_dual_add_f32 v41, v76, v41
	v_add_f32_e32 v34, v35, v34
	v_fma_f32 v35, 0xbf1a4643, v224, -v37
	s_delay_alu instid0(VALU_DEP_3) | instskip(NEXT) | instid1(VALU_DEP_2)
	v_dual_fmac_f32 v37, 0xbf1a4643, v224 :: v_dual_add_f32 v36, v36, v41
	v_add_f32_e32 v34, v35, v34
	v_fma_f32 v35, 0xbf7ba420, v203, -v40
	s_delay_alu instid0(VALU_DEP_3) | instskip(SKIP_2) | instid1(VALU_DEP_4)
	v_add_f32_e32 v36, v37, v36
	v_fma_f32 v37, 0x3f3d2fb0, v15, -v46
	v_fmac_f32_e32 v40, 0xbf7ba420, v203
	v_add_f32_e32 v34, v35, v34
	v_fma_f32 v35, 0xbf59a7d5, v126, -v42
	s_delay_alu instid0(VALU_DEP_3) | instskip(SKIP_2) | instid1(VALU_DEP_4)
	v_dual_add_f32 v37, v77, v37 :: v_dual_add_f32 v36, v40, v36
	v_fma_f32 v40, 0x3dbcf732, v242, -v47
	v_fmac_f32_e32 v42, 0xbf59a7d5, v126
	v_add_f32_e32 v34, v35, v34
	v_fma_f32 v35, 0xbe8c1d8e, v10, -v43
	v_fmac_f32_e32 v43, 0xbe8c1d8e, v10
	s_delay_alu instid0(VALU_DEP_4) | instskip(SKIP_1) | instid1(VALU_DEP_4)
	v_dual_add_f32 v37, v40, v37 :: v_dual_add_f32 v36, v42, v36
	v_mul_f32_e32 v42, 0xbf65296c, v12
	v_add_f32_e32 v34, v35, v34
	v_fma_f32 v35, 0x3ee437d1, v4, -v44
	v_fmac_f32_e32 v44, 0x3ee437d1, v4
	v_dual_add_f32 v36, v43, v36 :: v_dual_mul_f32 v43, 0xbf4c4adb, v245
	s_delay_alu instid0(VALU_DEP_3) | instskip(SKIP_1) | instid1(VALU_DEP_3)
	v_add_f32_e32 v34, v35, v34
	v_fma_f32 v35, 0x3f6eb680, v59, -v45
	v_add_f32_e32 v36, v44, v36
	s_delay_alu instid0(VALU_DEP_4) | instskip(SKIP_1) | instid1(VALU_DEP_4)
	v_fma_f32 v41, 0xbf1a4643, v243, -v43
	v_mul_f32_e32 v44, 0xbf65296c, v14
	v_dual_fmac_f32 v43, 0xbf1a4643, v243 :: v_dual_add_f32 v34, v35, v34
	v_fmamk_f32 v35, v15, 0x3f3d2fb0, v46
	s_delay_alu instid0(VALU_DEP_1) | instskip(NEXT) | instid1(VALU_DEP_1)
	v_add_f32_e32 v35, v77, v35
	v_dual_add_f32 v35, v48, v35 :: v_dual_mul_f32 v48, 0xbf4c4adb, v225
	s_delay_alu instid0(VALU_DEP_1) | instskip(SKIP_1) | instid1(VALU_DEP_2)
	v_fmamk_f32 v49, v241, 0xbf1a4643, v48
	v_fma_f32 v40, 0xbf1a4643, v241, -v48
	v_add_f32_e32 v35, v49, v35
	v_mul_f32_e32 v49, 0xbe3c28d5, v221
	s_delay_alu instid0(VALU_DEP_1) | instskip(SKIP_1) | instid1(VALU_DEP_2)
	v_dual_add_f32 v37, v40, v37 :: v_dual_fmamk_f32 v50, v222, 0xbf7ba420, v49
	v_fma_f32 v40, 0xbf7ba420, v222, -v49
	v_dual_add_f32 v35, v50, v35 :: v_dual_mul_f32 v50, 0x3f06c442, v57
	s_delay_alu instid0(VALU_DEP_2) | instskip(NEXT) | instid1(VALU_DEP_2)
	v_add_f32_e32 v37, v40, v37
	v_fmamk_f32 v51, v56, 0xbf59a7d5, v50
	v_fma_f32 v40, 0xbf59a7d5, v56, -v50
	s_delay_alu instid0(VALU_DEP_2) | instskip(SKIP_1) | instid1(VALU_DEP_1)
	v_add_f32_e32 v35, v51, v35
	v_mul_f32_e32 v51, 0x3f763a35, v53
	v_dual_add_f32 v37, v40, v37 :: v_dual_fmamk_f32 v52, v11, 0xbe8c1d8e, v51
	v_fma_f32 v40, 0xbe8c1d8e, v11, -v51
	s_delay_alu instid0(VALU_DEP_2) | instskip(NEXT) | instid1(VALU_DEP_1)
	v_dual_add_f32 v35, v52, v35 :: v_dual_mul_f32 v52, 0x3f65296c, v8
	v_dual_add_f32 v37, v40, v37 :: v_dual_fmamk_f32 v54, v5, 0x3ee437d1, v52
	v_fma_f32 v40, 0x3ee437d1, v5, -v52
	s_delay_alu instid0(VALU_DEP_2) | instskip(NEXT) | instid1(VALU_DEP_2)
	v_dual_add_f32 v35, v54, v35 :: v_dual_mul_f32 v54, 0x3eb8f4ab, v58
	v_add_f32_e32 v37, v40, v37
	v_fmac_f32_e32 v45, 0x3f6eb680, v59
	s_delay_alu instid0(VALU_DEP_3) | instskip(NEXT) | instid1(VALU_DEP_2)
	v_fma_f32 v40, 0x3f6eb680, v124, -v54
	v_add_f32_e32 v36, v45, v36
	v_mul_f32_e32 v45, 0xbf4c4adb, v244
	s_delay_alu instid0(VALU_DEP_3) | instskip(SKIP_2) | instid1(VALU_DEP_4)
	v_add_f32_e32 v37, v40, v37
	v_fma_f32 v40, 0x3ee437d1, v13, -v42
	v_fmac_f32_e32 v42, 0x3ee437d1, v13
	v_fmamk_f32 v46, v242, 0xbf1a4643, v45
	s_delay_alu instid0(VALU_DEP_3) | instskip(NEXT) | instid1(VALU_DEP_3)
	v_add_f32_e32 v40, v76, v40
	v_add_f32_e32 v42, v76, v42
	s_delay_alu instid0(VALU_DEP_2) | instskip(NEXT) | instid1(VALU_DEP_2)
	v_dual_add_f32 v40, v41, v40 :: v_dual_fmamk_f32 v41, v15, 0x3ee437d1, v44
	v_add_f32_e32 v42, v43, v42
	v_fma_f32 v43, 0x3ee437d1, v15, -v44
	s_delay_alu instid0(VALU_DEP_3) | instskip(NEXT) | instid1(VALU_DEP_2)
	v_add_f32_e32 v41, v77, v41
	v_add_f32_e32 v43, v77, v43
	s_delay_alu instid0(VALU_DEP_2) | instskip(NEXT) | instid1(VALU_DEP_1)
	v_dual_add_f32 v41, v46, v41 :: v_dual_mul_f32 v46, 0x3e3c28d5, v223
	v_fma_f32 v47, 0xbf7ba420, v224, -v46
	v_fmac_f32_e32 v46, 0xbf7ba420, v224
	s_delay_alu instid0(VALU_DEP_2) | instskip(NEXT) | instid1(VALU_DEP_2)
	v_dual_add_f32 v40, v47, v40 :: v_dual_mul_f32 v47, 0x3e3c28d5, v225
	v_add_f32_e32 v42, v46, v42
	s_delay_alu instid0(VALU_DEP_2) | instskip(NEXT) | instid1(VALU_DEP_1)
	v_fmamk_f32 v48, v241, 0xbf7ba420, v47
	v_dual_add_f32 v41, v48, v41 :: v_dual_mul_f32 v48, 0x3f763a35, v127
	s_delay_alu instid0(VALU_DEP_1) | instskip(SKIP_1) | instid1(VALU_DEP_2)
	v_fma_f32 v49, 0xbe8c1d8e, v203, -v48
	v_fmac_f32_e32 v48, 0xbe8c1d8e, v203
	v_dual_fmamk_f32 v55, v124, 0x3f6eb680, v54 :: v_dual_add_f32 v40, v49, v40
	v_mul_f32_e32 v49, 0x3f763a35, v221
	s_delay_alu instid0(VALU_DEP_2) | instskip(SKIP_1) | instid1(VALU_DEP_3)
	v_dual_add_f32 v35, v55, v35 :: v_dual_add_f32 v42, v48, v42
	v_mul_f32_e32 v48, 0x3f763a35, v223
	v_fmamk_f32 v50, v222, 0xbe8c1d8e, v49
	s_delay_alu instid0(VALU_DEP_1) | instskip(SKIP_1) | instid1(VALU_DEP_1)
	v_add_f32_e32 v41, v50, v41
	v_mul_f32_e32 v50, 0x3f2c7751, v125
	v_fma_f32 v51, 0x3f3d2fb0, v126, -v50
	v_fmac_f32_e32 v50, 0x3f3d2fb0, v126
	s_delay_alu instid0(VALU_DEP_2) | instskip(NEXT) | instid1(VALU_DEP_2)
	v_dual_add_f32 v40, v51, v40 :: v_dual_mul_f32 v51, 0x3f2c7751, v57
	v_add_f32_e32 v42, v50, v42
	v_fma_f32 v44, 0xbf1a4643, v242, -v45
	v_mul_f32_e32 v50, 0xbf65296c, v125
	v_mul_f32_e32 v45, 0xbe3c28d5, v245
	v_fmamk_f32 v52, v56, 0x3f3d2fb0, v51
	s_delay_alu instid0(VALU_DEP_4) | instskip(NEXT) | instid1(VALU_DEP_2)
	v_add_f32_e32 v43, v44, v43
	v_add_f32_e32 v41, v52, v41
	v_mul_f32_e32 v52, 0xbeb8f4ab, v9
	s_delay_alu instid0(VALU_DEP_1) | instskip(SKIP_1) | instid1(VALU_DEP_2)
	v_fma_f32 v54, 0x3f6eb680, v10, -v52
	v_fmac_f32_e32 v52, 0x3f6eb680, v10
	v_add_f32_e32 v40, v54, v40
	s_delay_alu instid0(VALU_DEP_2) | instskip(SKIP_2) | instid1(VALU_DEP_2)
	v_add_f32_e32 v42, v52, v42
	v_fma_f32 v44, 0xbf7ba420, v241, -v47
	v_mul_f32_e32 v54, 0xbeb8f4ab, v53
	v_dual_mul_f32 v52, 0x3f4c4adb, v6 :: v_dual_add_f32 v43, v44, v43
	s_delay_alu instid0(VALU_DEP_2) | instskip(NEXT) | instid1(VALU_DEP_1)
	v_fmamk_f32 v55, v11, 0x3f6eb680, v54
	v_add_f32_e32 v41, v55, v41
	v_mul_f32_e32 v55, 0xbf7ee86f, v6
	s_delay_alu instid0(VALU_DEP_1) | instskip(SKIP_1) | instid1(VALU_DEP_2)
	v_fma_f32 v198, 0x3dbcf732, v4, -v55
	v_fmac_f32_e32 v55, 0x3dbcf732, v4
	v_add_f32_e32 v40, v198, v40
	v_mul_f32_e32 v198, 0xbf7ee86f, v8
	s_delay_alu instid0(VALU_DEP_3) | instskip(SKIP_2) | instid1(VALU_DEP_4)
	v_add_f32_e32 v42, v55, v42
	v_fma_f32 v44, 0xbe8c1d8e, v222, -v49
	v_mul_f32_e32 v49, 0x3eb8f4ab, v127
	v_fmamk_f32 v199, v5, 0x3dbcf732, v198
	s_delay_alu instid0(VALU_DEP_3) | instskip(NEXT) | instid1(VALU_DEP_2)
	v_add_f32_e32 v43, v44, v43
	v_add_f32_e32 v41, v199, v41
	v_mul_f32_e32 v199, 0xbf06c442, v7
	s_delay_alu instid0(VALU_DEP_1) | instskip(NEXT) | instid1(VALU_DEP_1)
	v_fma_f32 v201, 0xbf59a7d5, v59, -v199
	v_dual_fmac_f32 v199, 0xbf59a7d5, v59 :: v_dual_add_f32 v40, v201, v40
	s_delay_alu instid0(VALU_DEP_1) | instskip(SKIP_1) | instid1(VALU_DEP_1)
	v_add_f32_e32 v46, v199, v42
	v_fma_f32 v44, 0x3f3d2fb0, v56, -v51
	v_add_f32_e32 v43, v44, v43
	v_fma_f32 v44, 0x3f6eb680, v11, -v54
	v_mul_f32_e32 v54, 0x3f2c7751, v7
	s_delay_alu instid0(VALU_DEP_2) | instskip(SKIP_1) | instid1(VALU_DEP_1)
	v_add_f32_e32 v43, v44, v43
	v_fma_f32 v44, 0x3dbcf732, v5, -v198
	v_dual_mul_f32 v198, 0xbe3c28d5, v244 :: v_dual_add_f32 v43, v44, v43
	v_fma_f32 v44, 0xbf59a7d5, v124, -v200
	s_delay_alu instid0(VALU_DEP_1) | instskip(SKIP_1) | instid1(VALU_DEP_2)
	v_dual_add_f32 v47, v44, v43 :: v_dual_mul_f32 v44, 0xbf7ee86f, v12
	v_fma_f32 v43, 0xbf7ba420, v243, -v45
	v_fma_f32 v42, 0x3dbcf732, v13, -v44
	v_fmac_f32_e32 v44, 0x3dbcf732, v13
	s_delay_alu instid0(VALU_DEP_2) | instskip(NEXT) | instid1(VALU_DEP_2)
	v_add_f32_e32 v42, v76, v42
	v_add_f32_e32 v44, v76, v44
	s_delay_alu instid0(VALU_DEP_2) | instskip(SKIP_2) | instid1(VALU_DEP_2)
	v_add_f32_e32 v42, v43, v42
	v_fma_f32 v43, 0xbe8c1d8e, v224, -v48
	v_fmac_f32_e32 v48, 0xbe8c1d8e, v224
	v_dual_mul_f32 v51, 0xbf06c442, v9 :: v_dual_add_f32 v42, v43, v42
	v_fma_f32 v43, 0x3f6eb680, v203, -v49
	s_delay_alu instid0(VALU_DEP_1) | instskip(SKIP_1) | instid1(VALU_DEP_1)
	v_dual_add_f32 v41, v202, v41 :: v_dual_add_f32 v42, v43, v42
	v_fma_f32 v43, 0x3ee437d1, v126, -v50
	v_add_f32_e32 v42, v43, v42
	v_fma_f32 v43, 0xbf59a7d5, v10, -v51
	s_delay_alu instid0(VALU_DEP_1) | instskip(SKIP_2) | instid1(VALU_DEP_2)
	v_add_f32_e32 v42, v43, v42
	v_fma_f32 v43, 0xbf1a4643, v4, -v52
	v_fmac_f32_e32 v52, 0xbf1a4643, v4
	v_add_f32_e32 v42, v43, v42
	v_fma_f32 v43, 0x3f3d2fb0, v59, -v54
	s_delay_alu instid0(VALU_DEP_1) | instskip(NEXT) | instid1(VALU_DEP_1)
	v_dual_add_f32 v42, v43, v42 :: v_dual_fmac_f32 v45, 0xbf7ba420, v243
	v_add_f32_e32 v44, v45, v44
	s_delay_alu instid0(VALU_DEP_1)
	v_dual_add_f32 v44, v48, v44 :: v_dual_mul_f32 v55, 0xbf7ee86f, v14
	v_fma_f32 v48, 0xbf7ba420, v242, -v198
	v_fmac_f32_e32 v50, 0x3ee437d1, v126
	v_fmac_f32_e32 v51, 0xbf59a7d5, v10
	v_fmamk_f32 v199, v242, 0xbf7ba420, v198
	v_fmamk_f32 v43, v15, 0x3dbcf732, v55
	s_delay_alu instid0(VALU_DEP_1) | instskip(NEXT) | instid1(VALU_DEP_1)
	v_add_f32_e32 v43, v77, v43
	v_add_f32_e32 v43, v199, v43
	v_mul_f32_e32 v199, 0x3f763a35, v225
	s_delay_alu instid0(VALU_DEP_1) | instskip(NEXT) | instid1(VALU_DEP_1)
	v_fmamk_f32 v200, v241, 0xbe8c1d8e, v199
	v_dual_add_f32 v43, v200, v43 :: v_dual_mul_f32 v200, 0x3eb8f4ab, v221
	v_fmac_f32_e32 v49, 0x3f6eb680, v203
	s_delay_alu instid0(VALU_DEP_1) | instskip(SKIP_1) | instid1(VALU_DEP_2)
	v_dual_fmamk_f32 v201, v222, 0x3f6eb680, v200 :: v_dual_add_f32 v44, v49, v44
	v_fma_f32 v45, 0x3dbcf732, v15, -v55
	v_add_f32_e32 v43, v201, v43
	s_delay_alu instid0(VALU_DEP_2) | instskip(NEXT) | instid1(VALU_DEP_1)
	v_add_f32_e32 v45, v77, v45
	v_dual_add_f32 v45, v48, v45 :: v_dual_add_f32 v44, v50, v44
	v_mul_f32_e32 v50, 0xbf763a35, v12
	s_delay_alu instid0(VALU_DEP_2) | instskip(NEXT) | instid1(VALU_DEP_1)
	v_dual_add_f32 v44, v51, v44 :: v_dual_mul_f32 v51, 0x3f06c442, v245
	v_dual_add_f32 v44, v52, v44 :: v_dual_mul_f32 v201, 0xbf65296c, v57
	v_fma_f32 v48, 0xbe8c1d8e, v241, -v199
	v_mul_f32_e32 v52, 0xbf763a35, v14
	s_delay_alu instid0(VALU_DEP_4) | instskip(NEXT) | instid1(VALU_DEP_4)
	v_fma_f32 v49, 0xbf59a7d5, v243, -v51
	v_fmamk_f32 v202, v56, 0x3ee437d1, v201
	s_delay_alu instid0(VALU_DEP_4) | instskip(SKIP_1) | instid1(VALU_DEP_3)
	v_add_f32_e32 v45, v48, v45
	v_fma_f32 v48, 0x3f6eb680, v222, -v200
	v_dual_add_f32 v43, v202, v43 :: v_dual_mul_f32 v202, 0xbf06c442, v53
	s_delay_alu instid0(VALU_DEP_1) | instskip(NEXT) | instid1(VALU_DEP_1)
	v_dual_add_f32 v45, v48, v45 :: v_dual_fmamk_f32 v246, v11, 0xbf59a7d5, v202
	v_dual_add_f32 v43, v246, v43 :: v_dual_mul_f32 v246, 0x3f4c4adb, v8
	s_delay_alu instid0(VALU_DEP_1) | instskip(NEXT) | instid1(VALU_DEP_1)
	v_fmamk_f32 v247, v5, 0xbf1a4643, v246
	v_add_f32_e32 v43, v247, v43
	v_mul_f32_e32 v247, 0x3f2c7751, v58
	v_fmac_f32_e32 v54, 0x3f3d2fb0, v59
	s_delay_alu instid0(VALU_DEP_2) | instskip(NEXT) | instid1(VALU_DEP_2)
	v_fmamk_f32 v248, v124, 0x3f3d2fb0, v247
	v_add_f32_e32 v44, v54, v44
	v_fma_f32 v48, 0x3ee437d1, v56, -v201
	s_delay_alu instid0(VALU_DEP_1) | instskip(SKIP_1) | instid1(VALU_DEP_1)
	v_dual_mul_f32 v54, 0x3f06c442, v244 :: v_dual_add_f32 v45, v48, v45
	v_fma_f32 v48, 0xbf59a7d5, v11, -v202
	v_add_f32_e32 v45, v48, v45
	v_fma_f32 v48, 0xbf1a4643, v5, -v246
	s_delay_alu instid0(VALU_DEP_1) | instskip(SKIP_1) | instid1(VALU_DEP_1)
	v_add_f32_e32 v45, v48, v45
	v_fma_f32 v48, 0x3f3d2fb0, v124, -v247
	v_add_f32_e32 v45, v48, v45
	v_fma_f32 v48, 0xbe8c1d8e, v13, -v50
	v_fmac_f32_e32 v50, 0xbe8c1d8e, v13
	s_delay_alu instid0(VALU_DEP_2) | instskip(NEXT) | instid1(VALU_DEP_2)
	v_dual_fmamk_f32 v55, v242, 0xbf59a7d5, v54 :: v_dual_add_f32 v48, v76, v48
	v_add_f32_e32 v50, v76, v50
	s_delay_alu instid0(VALU_DEP_2) | instskip(SKIP_1) | instid1(VALU_DEP_1)
	v_dual_add_f32 v43, v248, v43 :: v_dual_add_f32 v48, v49, v48
	v_fmamk_f32 v49, v15, 0xbe8c1d8e, v52
	v_add_f32_e32 v49, v77, v49
	s_delay_alu instid0(VALU_DEP_1) | instskip(SKIP_1) | instid1(VALU_DEP_1)
	v_add_f32_e32 v49, v55, v49
	v_mul_f32_e32 v55, 0x3f2c7751, v223
	v_fma_f32 v198, 0x3f3d2fb0, v224, -v55
	s_delay_alu instid0(VALU_DEP_1) | instskip(SKIP_2) | instid1(VALU_DEP_2)
	v_add_f32_e32 v48, v198, v48
	v_mul_f32_e32 v198, 0x3f2c7751, v225
	v_fmac_f32_e32 v55, 0x3f3d2fb0, v224
	v_fmamk_f32 v199, v241, 0x3f3d2fb0, v198
	s_delay_alu instid0(VALU_DEP_1) | instskip(SKIP_1) | instid1(VALU_DEP_1)
	v_add_f32_e32 v49, v199, v49
	v_mul_f32_e32 v199, 0xbf65296c, v127
	v_fma_f32 v200, 0x3ee437d1, v203, -v199
	s_delay_alu instid0(VALU_DEP_1) | instskip(SKIP_2) | instid1(VALU_DEP_2)
	v_add_f32_e32 v48, v200, v48
	v_mul_f32_e32 v200, 0xbf65296c, v221
	v_fmac_f32_e32 v199, 0x3ee437d1, v203
	v_fmamk_f32 v201, v222, 0x3ee437d1, v200
	s_delay_alu instid0(VALU_DEP_1) | instskip(SKIP_1) | instid1(VALU_DEP_1)
	v_add_f32_e32 v49, v201, v49
	v_mul_f32_e32 v201, 0xbe3c28d5, v125
	v_fma_f32 v202, 0xbf7ba420, v126, -v201
	s_delay_alu instid0(VALU_DEP_1) | instskip(SKIP_1) | instid1(VALU_DEP_1)
	v_dual_fmac_f32 v201, 0xbf7ba420, v126 :: v_dual_add_f32 v48, v202, v48
	v_mul_f32_e32 v202, 0xbe3c28d5, v57
	v_fmamk_f32 v246, v56, 0xbf7ba420, v202
	s_delay_alu instid0(VALU_DEP_1) | instskip(SKIP_1) | instid1(VALU_DEP_1)
	v_add_f32_e32 v49, v246, v49
	v_mul_f32_e32 v246, 0x3f7ee86f, v9
	v_fma_f32 v247, 0x3dbcf732, v10, -v246
	s_delay_alu instid0(VALU_DEP_1) | instskip(NEXT) | instid1(VALU_DEP_1)
	v_dual_add_f32 v48, v247, v48 :: v_dual_mul_f32 v247, 0x3f7ee86f, v53
	v_fmamk_f32 v248, v11, 0x3dbcf732, v247
	s_delay_alu instid0(VALU_DEP_1) | instskip(NEXT) | instid1(VALU_DEP_1)
	v_dual_add_f32 v49, v248, v49 :: v_dual_mul_f32 v248, 0xbeb8f4ab, v6
	v_fma_f32 v249, 0x3f6eb680, v4, -v248
	v_fmac_f32_e32 v248, 0x3f6eb680, v4
	s_delay_alu instid0(VALU_DEP_2) | instskip(NEXT) | instid1(VALU_DEP_1)
	v_dual_add_f32 v48, v249, v48 :: v_dual_fmac_f32 v51, 0xbf59a7d5, v243
	v_add_f32_e32 v50, v51, v50
	v_fma_f32 v51, 0xbe8c1d8e, v15, -v52
	v_fma_f32 v52, 0xbf59a7d5, v242, -v54
	s_delay_alu instid0(VALU_DEP_2) | instskip(NEXT) | instid1(VALU_DEP_1)
	v_dual_add_f32 v50, v55, v50 :: v_dual_add_f32 v51, v77, v51
	v_dual_add_f32 v50, v199, v50 :: v_dual_add_f32 v51, v52, v51
	v_fma_f32 v52, 0x3f3d2fb0, v241, -v198
	v_mul_f32_e32 v198, 0x3f763a35, v245
	s_delay_alu instid0(VALU_DEP_3) | instskip(SKIP_1) | instid1(VALU_DEP_4)
	v_dual_mul_f32 v199, 0xbeb8f4ab, v223 :: v_dual_add_f32 v50, v201, v50
	v_mul_f32_e32 v201, 0x3f7ee86f, v125
	v_add_f32_e32 v51, v52, v51
	v_fma_f32 v52, 0x3ee437d1, v222, -v200
	v_fmac_f32_e32 v246, 0x3dbcf732, v10
	v_mul_f32_e32 v200, 0xbf06c442, v127
	s_delay_alu instid0(VALU_DEP_3) | instskip(SKIP_1) | instid1(VALU_DEP_4)
	v_add_f32_e32 v51, v52, v51
	v_fma_f32 v52, 0xbf7ba420, v56, -v202
	v_add_f32_e32 v50, v246, v50
	v_mul_f32_e32 v202, 0xbf2c7751, v9
	s_delay_alu instid0(VALU_DEP_3) | instskip(NEXT) | instid1(VALU_DEP_3)
	v_dual_mul_f32 v246, 0xbe3c28d5, v6 :: v_dual_add_f32 v51, v52, v51
	v_dual_add_f32 v50, v248, v50 :: v_dual_mul_f32 v249, 0xbeb8f4ab, v8
	v_fma_f32 v52, 0x3dbcf732, v11, -v247
	v_mul_f32_e32 v247, 0x3f65296c, v7
	s_delay_alu instid0(VALU_DEP_2) | instskip(NEXT) | instid1(VALU_DEP_1)
	v_dual_fmamk_f32 v250, v5, 0x3f6eb680, v249 :: v_dual_add_f32 v51, v52, v51
	v_dual_add_f32 v49, v250, v49 :: v_dual_mul_f32 v250, 0xbf4c4adb, v7
	s_delay_alu instid0(VALU_DEP_1) | instskip(SKIP_1) | instid1(VALU_DEP_2)
	v_fma_f32 v252, 0xbf1a4643, v59, -v250
	v_fmac_f32_e32 v250, 0xbf1a4643, v59
	v_add_f32_e32 v48, v252, v48
	s_delay_alu instid0(VALU_DEP_2) | instskip(SKIP_2) | instid1(VALU_DEP_2)
	v_add_f32_e32 v54, v250, v50
	v_fma_f32 v52, 0x3f6eb680, v5, -v249
	v_mul_f32_e32 v249, 0x3f763a35, v244
	v_add_f32_e32 v51, v52, v51
	v_fma_f32 v52, 0xbf1a4643, v124, -v251
	s_delay_alu instid0(VALU_DEP_3) | instskip(NEXT) | instid1(VALU_DEP_2)
	v_fmamk_f32 v250, v242, 0xbe8c1d8e, v249
	v_dual_mul_f32 v248, 0xbf4c4adb, v14 :: v_dual_add_f32 v55, v52, v51
	v_mul_f32_e32 v52, 0xbf4c4adb, v12
	v_fma_f32 v51, 0xbe8c1d8e, v243, -v198
	v_fmac_f32_e32 v198, 0xbe8c1d8e, v243
	s_delay_alu instid0(VALU_DEP_3) | instskip(SKIP_1) | instid1(VALU_DEP_2)
	v_fma_f32 v50, 0xbf1a4643, v13, -v52
	v_fmac_f32_e32 v52, 0xbf1a4643, v13
	v_add_f32_e32 v50, v76, v50
	v_fmamk_f32 v253, v124, 0xbf1a4643, v251
	s_delay_alu instid0(VALU_DEP_3) | instskip(NEXT) | instid1(VALU_DEP_3)
	v_add_f32_e32 v52, v76, v52
	v_add_f32_e32 v50, v51, v50
	v_fma_f32 v51, 0x3f6eb680, v224, -v199
	s_delay_alu instid0(VALU_DEP_3) | instskip(SKIP_1) | instid1(VALU_DEP_3)
	v_dual_add_f32 v49, v253, v49 :: v_dual_add_f32 v52, v198, v52
	v_mul_f32_e32 v198, 0xbf06c442, v12
	v_add_f32_e32 v50, v51, v50
	v_fma_f32 v51, 0xbf59a7d5, v203, -v200
	s_delay_alu instid0(VALU_DEP_1) | instskip(SKIP_1) | instid1(VALU_DEP_1)
	v_add_f32_e32 v50, v51, v50
	v_fma_f32 v51, 0x3dbcf732, v126, -v201
	v_add_f32_e32 v50, v51, v50
	v_fma_f32 v51, 0x3f3d2fb0, v10, -v202
	s_delay_alu instid0(VALU_DEP_1) | instskip(SKIP_1) | instid1(VALU_DEP_1)
	v_add_f32_e32 v50, v51, v50
	v_fma_f32 v51, 0xbf7ba420, v4, -v246
	v_add_f32_e32 v50, v51, v50
	v_fma_f32 v51, 0x3ee437d1, v59, -v247
	s_delay_alu instid0(VALU_DEP_1) | instskip(SKIP_1) | instid1(VALU_DEP_2)
	v_dual_fmac_f32 v199, 0x3f6eb680, v224 :: v_dual_add_f32 v50, v51, v50
	v_fmamk_f32 v51, v15, 0xbf1a4643, v248
	v_add_f32_e32 v52, v199, v52
	v_fma_f32 v199, 0xbf59a7d5, v13, -v198
	v_fmac_f32_e32 v202, 0x3f3d2fb0, v10
	s_delay_alu instid0(VALU_DEP_4) | instskip(NEXT) | instid1(VALU_DEP_3)
	v_dual_fmac_f32 v198, 0xbf59a7d5, v13 :: v_dual_add_f32 v51, v77, v51
	v_add_f32_e32 v199, v76, v199
	v_fmac_f32_e32 v201, 0x3dbcf732, v126
	s_delay_alu instid0(VALU_DEP_3) | instskip(SKIP_1) | instid1(VALU_DEP_1)
	v_dual_mul_f32 v12, 0xbe3c28d5, v12 :: v_dual_add_f32 v51, v250, v51
	v_mul_f32_e32 v250, 0xbeb8f4ab, v225
	v_fmamk_f32 v251, v241, 0x3f6eb680, v250
	s_delay_alu instid0(VALU_DEP_1) | instskip(SKIP_2) | instid1(VALU_DEP_2)
	v_add_f32_e32 v51, v251, v51
	v_mul_f32_e32 v251, 0xbf06c442, v221
	v_fmac_f32_e32 v200, 0xbf59a7d5, v203
	v_fmamk_f32 v252, v222, 0xbf59a7d5, v251
	s_delay_alu instid0(VALU_DEP_2)
	v_add_f32_e32 v52, v200, v52
	v_fma_f32 v200, 0xbf7ba420, v13, -v12
	v_fmac_f32_e32 v12, 0xbf7ba420, v13
	v_mul_f32_e32 v13, 0xbf06c442, v14
	v_dual_add_f32 v51, v252, v51 :: v_dual_mul_f32 v252, 0x3f7ee86f, v57
	v_add_f32_e32 v52, v201, v52
	v_mul_f32_e32 v14, 0xbe3c28d5, v14
	v_fma_f32 v201, 0xbf1a4643, v15, -v248
	v_add_f32_e32 v200, v76, v200
	s_delay_alu instid0(VALU_DEP_4) | instskip(SKIP_2) | instid1(VALU_DEP_3)
	v_dual_fmamk_f32 v253, v56, 0x3dbcf732, v252 :: v_dual_add_f32 v52, v202, v52
	v_fmamk_f32 v202, v15, 0xbf59a7d5, v13
	v_fma_f32 v13, 0xbf59a7d5, v15, -v13
	v_add_f32_e32 v51, v253, v51
	s_delay_alu instid0(VALU_DEP_3) | instskip(NEXT) | instid1(VALU_DEP_3)
	v_dual_mul_f32 v253, 0xbf2c7751, v53 :: v_dual_add_f32 v202, v77, v202
	v_dual_add_f32 v13, v77, v13 :: v_dual_fmac_f32 v246, 0xbf7ba420, v4
	s_delay_alu instid0(VALU_DEP_2) | instskip(NEXT) | instid1(VALU_DEP_1)
	v_fmamk_f32 v254, v11, 0x3f3d2fb0, v253
	v_dual_add_f32 v51, v254, v51 :: v_dual_mul_f32 v254, 0xbe3c28d5, v8
	s_delay_alu instid0(VALU_DEP_1) | instskip(NEXT) | instid1(VALU_DEP_1)
	v_fmamk_f32 v226, v5, 0xbf7ba420, v254
	v_dual_add_f32 v51, v226, v51 :: v_dual_mul_f32 v226, 0x3f65296c, v58
	v_dual_add_f32 v52, v246, v52 :: v_dual_fmac_f32 v247, 0x3ee437d1, v59
	s_delay_alu instid0(VALU_DEP_1) | instskip(NEXT) | instid1(VALU_DEP_1)
	v_dual_fmamk_f32 v227, v124, 0x3ee437d1, v226 :: v_dual_add_f32 v52, v247, v52
	v_add_f32_e32 v51, v227, v51
	v_fmamk_f32 v227, v15, 0xbf7ba420, v14
	v_fma_f32 v14, 0xbf7ba420, v15, -v14
	v_add_f32_e32 v15, v77, v201
	v_fma_f32 v201, 0xbe8c1d8e, v242, -v249
	s_delay_alu instid0(VALU_DEP_4) | instskip(NEXT) | instid1(VALU_DEP_4)
	v_dual_add_f32 v227, v77, v227 :: v_dual_add_f32 v198, v76, v198
	v_add_f32_e32 v14, v77, v14
	s_delay_alu instid0(VALU_DEP_3) | instskip(SKIP_1) | instid1(VALU_DEP_1)
	v_add_f32_e32 v15, v201, v15
	v_mul_f32_e32 v201, 0x3f65296c, v245
	v_fma_f32 v246, 0x3ee437d1, v243, -v201
	v_fmac_f32_e32 v201, 0x3ee437d1, v243
	s_delay_alu instid0(VALU_DEP_2) | instskip(NEXT) | instid1(VALU_DEP_2)
	v_dual_add_f32 v199, v246, v199 :: v_dual_mul_f32 v246, 0x3f65296c, v244
	v_add_f32_e32 v198, v201, v198
	v_mul_f32_e32 v244, 0x3eb8f4ab, v244
	s_delay_alu instid0(VALU_DEP_3) | instskip(SKIP_1) | instid1(VALU_DEP_1)
	v_fmamk_f32 v247, v242, 0x3ee437d1, v246
	v_fma_f32 v201, 0x3ee437d1, v242, -v246
	v_dual_add_f32 v202, v247, v202 :: v_dual_add_f32 v13, v201, v13
	v_mul_f32_e32 v201, 0x3eb8f4ab, v245
	s_delay_alu instid0(VALU_DEP_1) | instskip(NEXT) | instid1(VALU_DEP_1)
	v_fma_f32 v245, 0x3f6eb680, v243, -v201
	v_dual_add_f32 v200, v245, v200 :: v_dual_fmamk_f32 v245, v242, 0x3f6eb680, v244
	v_fmac_f32_e32 v201, 0x3f6eb680, v243
	s_delay_alu instid0(VALU_DEP_2) | instskip(NEXT) | instid1(VALU_DEP_1)
	v_dual_add_f32 v227, v245, v227 :: v_dual_add_f32 v12, v76, v12
	v_add_f32_e32 v12, v201, v12
	v_fma_f32 v201, 0x3f6eb680, v242, -v244
	s_delay_alu instid0(VALU_DEP_1) | instskip(SKIP_1) | instid1(VALU_DEP_1)
	v_add_f32_e32 v14, v201, v14
	v_fma_f32 v201, 0x3f6eb680, v241, -v250
	v_add_f32_e32 v15, v201, v15
	v_mul_f32_e32 v201, 0xbf7ee86f, v223
	s_delay_alu instid0(VALU_DEP_1) | instskip(SKIP_1) | instid1(VALU_DEP_1)
	v_fma_f32 v242, 0x3dbcf732, v224, -v201
	v_fmac_f32_e32 v201, 0x3dbcf732, v224
	v_dual_add_f32 v199, v242, v199 :: v_dual_add_f32 v198, v201, v198
	v_mul_f32_e32 v201, 0xbf06c442, v223
	s_delay_alu instid0(VALU_DEP_1) | instskip(SKIP_1) | instid1(VALU_DEP_2)
	v_fma_f32 v223, 0xbf59a7d5, v224, -v201
	v_fmac_f32_e32 v201, 0xbf59a7d5, v224
	v_add_f32_e32 v200, v223, v200
	s_delay_alu instid0(VALU_DEP_2) | instskip(SKIP_1) | instid1(VALU_DEP_1)
	v_add_f32_e32 v12, v201, v12
	v_fma_f32 v201, 0xbf59a7d5, v222, -v251
	v_dual_mul_f32 v242, 0xbf7ee86f, v225 :: v_dual_add_f32 v15, v201, v15
	s_delay_alu instid0(VALU_DEP_1) | instskip(SKIP_3) | instid1(VALU_DEP_4)
	v_fmamk_f32 v243, v241, 0x3dbcf732, v242
	v_mul_f32_e32 v224, 0xbf06c442, v225
	v_fma_f32 v225, 0x3dbcf732, v241, -v242
	v_mul_f32_e32 v201, 0x3f4c4adb, v127
	v_dual_mul_f32 v127, 0x3f2c7751, v127 :: v_dual_add_f32 v202, v243, v202
	s_delay_alu instid0(VALU_DEP_4) | instskip(SKIP_3) | instid1(VALU_DEP_3)
	v_fmamk_f32 v242, v241, 0xbf59a7d5, v224
	v_fma_f32 v224, 0xbf59a7d5, v241, -v224
	v_add_f32_e32 v13, v225, v13
	v_mul_f32_e32 v243, 0x3f7ee86f, v7
	v_dual_add_f32 v223, v242, v227 :: v_dual_add_f32 v14, v224, v14
	v_fma_f32 v224, 0xbf1a4643, v203, -v201
	v_fmac_f32_e32 v201, 0xbf1a4643, v203
	s_delay_alu instid0(VALU_DEP_2) | instskip(NEXT) | instid1(VALU_DEP_2)
	v_dual_add_f32 v199, v224, v199 :: v_dual_mul_f32 v224, 0x3f4c4adb, v221
	v_add_f32_e32 v198, v201, v198
	v_fma_f32 v201, 0x3f3d2fb0, v203, -v127
	v_fmac_f32_e32 v127, 0x3f3d2fb0, v203
	s_delay_alu instid0(VALU_DEP_2) | instskip(NEXT) | instid1(VALU_DEP_2)
	v_dual_fmamk_f32 v225, v222, 0xbf1a4643, v224 :: v_dual_add_f32 v200, v201, v200
	v_dual_mul_f32 v203, 0x3f2c7751, v221 :: v_dual_add_f32 v12, v127, v12
	s_delay_alu instid0(VALU_DEP_2) | instskip(SKIP_2) | instid1(VALU_DEP_4)
	v_add_f32_e32 v202, v225, v202
	v_fma_f32 v127, 0x3dbcf732, v56, -v252
	v_fma_f32 v221, 0xbf1a4643, v222, -v224
	v_fmamk_f32 v224, v222, 0x3f3d2fb0, v203
	v_fma_f32 v203, 0x3f3d2fb0, v222, -v203
	s_delay_alu instid0(VALU_DEP_4) | instskip(NEXT) | instid1(VALU_DEP_4)
	v_add_f32_e32 v15, v127, v15
	v_add_f32_e32 v13, v221, v13
	v_mul_f32_e32 v127, 0xbeb8f4ab, v125
	s_delay_alu instid0(VALU_DEP_4) | instskip(SKIP_1) | instid1(VALU_DEP_3)
	v_dual_add_f32 v201, v224, v223 :: v_dual_add_f32 v14, v203, v14
	v_mul_f32_e32 v125, 0xbf4c4adb, v125
	v_fma_f32 v203, 0x3f6eb680, v126, -v127
	s_delay_alu instid0(VALU_DEP_1) | instskip(SKIP_2) | instid1(VALU_DEP_2)
	v_add_f32_e32 v199, v203, v199
	v_mul_f32_e32 v203, 0xbeb8f4ab, v57
	v_mul_f32_e32 v57, 0xbf4c4adb, v57
	v_fmamk_f32 v221, v56, 0x3f6eb680, v203
	s_delay_alu instid0(VALU_DEP_1) | instskip(SKIP_1) | instid1(VALU_DEP_1)
	v_add_f32_e32 v202, v221, v202
	v_fmac_f32_e32 v127, 0x3f6eb680, v126
	v_add_f32_e32 v127, v127, v198
	v_fma_f32 v198, 0xbf1a4643, v126, -v125
	v_fmac_f32_e32 v125, 0xbf1a4643, v126
	s_delay_alu instid0(VALU_DEP_1) | instskip(SKIP_4) | instid1(VALU_DEP_2)
	v_add_f32_e32 v12, v125, v12
	v_fma_f32 v126, 0x3f6eb680, v56, -v203
	v_fmamk_f32 v203, v56, 0xbf1a4643, v57
	v_fma_f32 v56, 0xbf1a4643, v56, -v57
	v_dual_add_f32 v57, v198, v200 :: v_dual_mul_f32 v198, 0xbe3c28d5, v53
	v_add_f32_e32 v14, v56, v14
	v_fma_f32 v56, 0x3f3d2fb0, v11, -v253
	s_delay_alu instid0(VALU_DEP_1) | instskip(SKIP_3) | instid1(VALU_DEP_4)
	v_dual_add_f32 v15, v56, v15 :: v_dual_mul_f32 v56, 0xbe3c28d5, v9
	v_add_f32_e32 v13, v126, v13
	v_mul_f32_e32 v9, 0x3f65296c, v9
	v_add_f32_e32 v126, v203, v201
	v_fma_f32 v125, 0xbf7ba420, v10, -v56
	v_fmac_f32_e32 v56, 0xbf7ba420, v10
	s_delay_alu instid0(VALU_DEP_1)
	v_add_f32_e32 v56, v56, v127
	v_fma_f32 v127, 0x3ee437d1, v10, -v9
	v_fmac_f32_e32 v9, 0x3ee437d1, v10
	v_dual_mul_f32 v10, 0x3f65296c, v53 :: v_dual_add_f32 v125, v125, v199
	v_fmamk_f32 v199, v11, 0xbf7ba420, v198
	v_fma_f32 v53, 0xbf7ba420, v11, -v198
	s_delay_alu instid0(VALU_DEP_3) | instskip(SKIP_2) | instid1(VALU_DEP_2)
	v_dual_add_f32 v9, v9, v12 :: v_dual_fmamk_f32 v198, v11, 0x3ee437d1, v10
	v_fma_f32 v10, 0x3ee437d1, v11, -v10
	v_fma_f32 v12, 0xbf7ba420, v5, -v254
	v_dual_add_f32 v11, v53, v13 :: v_dual_add_f32 v10, v10, v14
	v_mul_f32_e32 v14, 0x3f2c7751, v6
	s_delay_alu instid0(VALU_DEP_3) | instskip(SKIP_2) | instid1(VALU_DEP_4)
	v_dual_add_f32 v12, v12, v15 :: v_dual_add_f32 v13, v127, v57
	v_mul_f32_e32 v6, 0xbf763a35, v6
	v_add_f32_e32 v53, v198, v126
	v_fma_f32 v15, 0x3f3d2fb0, v4, -v14
	s_delay_alu instid0(VALU_DEP_1) | instskip(SKIP_1) | instid1(VALU_DEP_2)
	v_dual_fmac_f32 v14, 0x3f3d2fb0, v4 :: v_dual_add_f32 v15, v15, v125
	v_mul_f32_e32 v57, 0x3f2c7751, v8
	v_dual_add_f32 v126, v14, v56 :: v_dual_add_f32 v199, v199, v202
	v_mul_f32_e32 v8, 0xbf763a35, v8
	s_delay_alu instid0(VALU_DEP_3) | instskip(NEXT) | instid1(VALU_DEP_1)
	v_fma_f32 v14, 0x3f3d2fb0, v5, -v57
	v_add_f32_e32 v127, v14, v11
	v_fma_f32 v11, 0xbe8c1d8e, v4, -v6
	v_fmac_f32_e32 v6, 0xbe8c1d8e, v4
	v_mul_f32_e32 v4, 0xbf763a35, v58
	s_delay_alu instid0(VALU_DEP_3) | instskip(NEXT) | instid1(VALU_DEP_2)
	v_add_f32_e32 v244, v11, v13
	v_dual_add_f32 v241, v6, v9 :: v_dual_fmamk_f32 v6, v124, 0xbe8c1d8e, v4
	v_fma_f32 v246, 0xbe8c1d8e, v124, -v4
	s_waitcnt vmcnt(0)
	v_and_b32_e32 v4, 0xffff, v0
	scratch_load_b32 v0, off, off offset:468 ; 4-byte Folded Reload
	v_fmamk_f32 v11, v5, 0xbe8c1d8e, v8
	v_mul_u32_u24_e32 v4, 0x77, v4
	v_fmamk_f32 v125, v5, 0x3f3d2fb0, v57
	v_fma_f32 v5, 0xbe8c1d8e, v5, -v8
	v_fma_f32 v8, 0x3ee437d1, v124, -v226
	s_delay_alu instid0(VALU_DEP_2)
	v_add_f32_e32 v242, v5, v10
	s_waitcnt vmcnt(0)
	v_add_nc_u32_e32 v0, v4, v0
	scratch_load_b32 v4, off, off offset:484 ; 4-byte Folded Reload
	v_add_f32_e32 v198, v125, v199
	s_waitcnt vmcnt(0)
	s_waitcnt_vscnt null, 0x0
	s_barrier
	v_lshl_add_u32 v0, v0, 3, v16
	buffer_gl0_inv
	v_add_f32_e32 v57, v6, v198
	v_mul_f32_e32 v6, 0x3f7ee86f, v58
	v_fma_f32 v5, 0x3dbcf732, v59, -v243
	ds_store_2addr_b64 v0, v[154:155], v[164:165] offset1:7
	ds_store_2addr_b64 v0, v[160:161], v[162:163] offset0:14 offset1:21
	ds_store_2addr_b64 v0, v[156:157], v[158:159] offset0:28 offset1:35
	;; [unrolled: 1-line block ×4, first 2 shown]
	v_mul_f32_e32 v245, 0xbf763a35, v7
	v_dual_fmac_f32 v243, 0x3dbcf732, v59 :: v_dual_add_f32 v58, v5, v244
	v_fmamk_f32 v5, v124, 0x3dbcf732, v6
	v_fma_f32 v6, 0x3dbcf732, v124, -v6
	s_delay_alu instid0(VALU_DEP_3) | instskip(SKIP_3) | instid1(VALU_DEP_2)
	v_add_f32_e32 v124, v243, v241
	v_add_f32_e32 v125, v11, v53
	v_fma_f32 v11, 0xbe8c1d8e, v59, -v245
	v_fmac_f32_e32 v245, 0xbe8c1d8e, v59
	v_dual_add_f32 v53, v8, v12 :: v_dual_add_f32 v56, v11, v15
	s_delay_alu instid0(VALU_DEP_2) | instskip(SKIP_2) | instid1(VALU_DEP_1)
	v_add_f32_e32 v126, v245, v126
	v_add_f32_e32 v59, v5, v125
	v_dual_add_f32 v125, v6, v242 :: v_dual_and_b32 v4, 0xffff, v4
	v_mul_u32_u24_e32 v4, 0x77, v4
	s_delay_alu instid0(VALU_DEP_1) | instskip(NEXT) | instid1(VALU_DEP_1)
	v_add_nc_u32_e32 v1, v4, v1
	v_lshl_add_u32 v1, v1, 3, v16
	ds_store_2addr_b64 v0, v[144:145], v[142:143] offset0:70 offset1:77
	ds_store_2addr_b64 v0, v[138:139], v[136:137] offset0:84 offset1:91
	;; [unrolled: 1-line block ×3, first 2 shown]
	ds_store_b64 v0, v[130:131] offset:896
	ds_store_2addr_b64 v1, v[166:167], v[196:197] offset1:7
	ds_store_2addr_b64 v1, v[192:193], v[194:195] offset0:14 offset1:21
	ds_store_2addr_b64 v1, v[188:189], v[190:191] offset0:28 offset1:35
	;; [unrolled: 1-line block ×4, first 2 shown]
	scratch_load_b32 v4, off, off offset:296 ; 4-byte Folded Reload
	s_waitcnt vmcnt(0)
	v_dual_add_f32 v127, v246, v127 :: v_dual_and_b32 v4, 0xff, v4
	scratch_store_b32 off, v4, off offset:468 ; 4-byte Folded Spill
	ds_store_2addr_b64 v1, v[178:179], v[176:177] offset0:70 offset1:77
	ds_store_2addr_b64 v1, v[174:175], v[172:173] offset0:84 offset1:91
	;; [unrolled: 1-line block ×3, first 2 shown]
	ds_store_b64 v1, v[140:141] offset:896
	s_and_saveexec_b32 s0, vcc_lo
	s_cbranch_execz .LBB0_5
; %bb.4:
	scratch_load_b32 v6, off, off offset:468 ; 4-byte Folded Reload
	v_dual_add_f32 v4, v77, v237 :: v_dual_add_f32 v5, v76, v236
	s_delay_alu instid0(VALU_DEP_1) | instskip(NEXT) | instid1(VALU_DEP_1)
	v_dual_add_f32 v4, v4, v209 :: v_dual_add_f32 v5, v5, v64
	v_dual_add_f32 v4, v4, v210 :: v_dual_add_f32 v5, v5, v65
	s_delay_alu instid0(VALU_DEP_1) | instskip(NEXT) | instid1(VALU_DEP_1)
	v_dual_add_f32 v4, v4, v211 :: v_dual_add_f32 v5, v5, v66
	;; [unrolled: 3-line block ×7, first 2 shown]
	v_add_f32_e32 v3, v4, v3
	s_delay_alu instid0(VALU_DEP_1) | instskip(NEXT) | instid1(VALU_DEP_1)
	v_dual_add_f32 v4, v5, v231 :: v_dual_add_f32 v3, v3, v2
	v_add_f32_e32 v2, v4, v229
	s_waitcnt vmcnt(0)
	v_lshl_add_u32 v6, v6, 3, v16
	s_delay_alu instid0(VALU_DEP_1)
	v_add_nc_u32_e32 v7, 0x800, v6
	v_add_nc_u32_e32 v8, 0x1000, v6
	ds_store_2addr_b64 v7, v[34:35], v[40:41] offset0:234 offset1:241
	ds_store_2addr_b64 v7, v[42:43], v[48:49] offset0:248 offset1:255
	;; [unrolled: 1-line block ×8, first 2 shown]
	ds_store_b64 v6, v[38:39] offset:4704
.LBB0_5:
	s_or_b32 exec_lo, exec_lo, s0
	scratch_load_b32 v24, off, off          ; 4-byte Folded Reload
	v_lshlrev_b32_e32 v2, 5, v235
	s_waitcnt vmcnt(0) lgkmcnt(0)
	s_waitcnt_vscnt null, 0x0
	s_barrier
	buffer_gl0_inv
	s_add_u32 s8, s8, 0x1298
	s_addc_u32 s9, s9, 0
	v_lshlrev_b32_e32 v164, 5, v24
	v_lshl_add_u32 v254, v24, 3, v16
	s_clause 0x3
	global_load_b128 v[140:143], v164, s[10:11] offset:896
	global_load_b128 v[128:131], v2, s[10:11] offset:896
	;; [unrolled: 1-line block ×4, first 2 shown]
	v_add_nc_u32_e32 v2, 0x800, v255
	ds_load_2addr_b64 v[4:7], v255 offset0:238 offset1:255
	ds_load_2addr_b64 v[8:11], v2 offset0:220 offset1:237
	s_waitcnt vmcnt(3) lgkmcnt(1)
	v_mul_f32_e32 v12, v5, v143
	v_mul_f32_e32 v3, v4, v143
	s_waitcnt vmcnt(2)
	v_mul_f32_e32 v13, v7, v131
	s_waitcnt vmcnt(0) lgkmcnt(0)
	v_mul_f32_e32 v166, v10, v139
	v_mul_f32_e32 v165, v6, v131
	v_fma_f32 v174, v4, v142, -v12
	v_dual_mul_f32 v4, v11, v139 :: v_dual_fmac_f32 v3, v5, v142
	v_fma_f32 v167, v6, v130, -v13
	v_fmac_f32_e32 v166, v11, v138
	v_fmac_f32_e32 v165, v7, v130
	s_delay_alu instid0(VALU_DEP_4) | instskip(SKIP_3) | instid1(VALU_DEP_2)
	v_fma_f32 v168, v10, v138, -v4
	ds_load_2addr_b64 v[4:7], v255 offset0:136 offset1:153
	v_mul_f32_e32 v173, v8, v135
	v_mul_f32_e32 v14, v9, v135
	v_dual_fmac_f32 v173, v9, v134 :: v_dual_add_nc_u32 v156, 0xcc0, v164
	v_lshlrev_b32_e32 v9, 5, v234
	s_clause 0x1
	global_load_b128 v[148:151], v9, s[10:11] offset:896
	global_load_b128 v[144:147], v9, s[10:11] offset:912
	v_fma_f32 v175, v8, v134, -v14
	ds_load_2addr_b64 v[160:163], v2 offset0:84 offset1:101
	s_waitcnt lgkmcnt(1)
	v_mul_f32_e32 v8, v5, v129
	v_mul_f32_e32 v169, v4, v129
	s_delay_alu instid0(VALU_DEP_2) | instskip(SKIP_1) | instid1(VALU_DEP_2)
	v_fma_f32 v170, v4, v128, -v8
	s_waitcnt vmcnt(1)
	v_dual_fmac_f32 v169, v5, v128 :: v_dual_mul_f32 v4, v7, v149
	v_mul_f32_e32 v186, v6, v149
	s_delay_alu instid0(VALU_DEP_2) | instskip(NEXT) | instid1(VALU_DEP_2)
	v_fma_f32 v185, v6, v148, -v4
	v_fmac_f32_e32 v186, v7, v148
	ds_load_2addr_b64 v[4:7], v2 offset0:118 offset1:135
	s_clause 0x1
	global_load_b128 v[152:155], v156, s[10:11] offset:896
	global_load_b128 v[156:159], v156, s[10:11] offset:912
	scratch_store_b32 off, v16, off offset:296 ; 4-byte Folded Spill
	s_waitcnt lgkmcnt(0)
	v_mul_f32_e32 v171, v4, v137
	v_mul_f32_e32 v8, v5, v137
	s_waitcnt vmcnt(2)
	s_delay_alu instid0(VALU_DEP_2) | instskip(SKIP_1) | instid1(VALU_DEP_1)
	v_dual_mul_f32 v188, v6, v145 :: v_dual_fmac_f32 v171, v5, v136
	s_waitcnt vmcnt(1)
	v_dual_fmac_f32 v188, v7, v144 :: v_dual_mul_f32 v5, v160, v155
	v_fma_f32 v172, v4, v136, -v8
	s_delay_alu instid0(VALU_DEP_2) | instskip(NEXT) | instid1(VALU_DEP_1)
	v_dual_mul_f32 v4, v7, v145 :: v_dual_fmac_f32 v5, v161, v154
	v_fma_f32 v187, v6, v144, -v4
	ds_load_2addr_b64 v[6:9], v255 offset0:102 offset1:119
	v_mul_f32_e32 v4, v163, v133
	s_delay_alu instid0(VALU_DEP_1) | instskip(NEXT) | instid1(VALU_DEP_1)
	v_fma_f32 v176, v162, v132, -v4
	v_dual_mul_f32 v4, v161, v155 :: v_dual_sub_f32 v197, v174, v176
	s_delay_alu instid0(VALU_DEP_1) | instskip(SKIP_3) | instid1(VALU_DEP_2)
	v_fma_f32 v4, v160, v154, -v4
	s_waitcnt lgkmcnt(0)
	v_dual_add_f32 v161, v174, v176 :: v_dual_mul_f32 v10, v9, v141
	v_mul_f32_e32 v13, v8, v141
	v_fma_f32 v12, v8, v140, -v10
	s_delay_alu instid0(VALU_DEP_2)
	v_fmac_f32_e32 v13, v9, v140
	ds_load_2addr_b64 v[8:11], v255 offset1:17
	v_add_nc_u32_e32 v184, 0xc00, v255
	v_sub_f32_e32 v160, v12, v174
	v_sub_f32_e32 v198, v12, v175
	;; [unrolled: 1-line block ×3, first 2 shown]
	s_waitcnt lgkmcnt(0)
	v_add_f32_e32 v15, v9, v13
	v_mul_f32_e32 v162, v162, v133
	v_fma_f32 v180, -0.5, v161, v8
	s_delay_alu instid0(VALU_DEP_3) | instskip(NEXT) | instid1(VALU_DEP_3)
	v_add_f32_e32 v15, v15, v3
	v_fmac_f32_e32 v162, v163, v132
	v_add_f32_e32 v14, v8, v12
	v_sub_f32_e32 v163, v174, v12
	s_delay_alu instid0(VALU_DEP_3) | instskip(NEXT) | instid1(VALU_DEP_1)
	v_add_f32_e32 v15, v15, v162
	v_dual_add_f32 v14, v14, v174 :: v_dual_add_f32 v179, v15, v173
	s_delay_alu instid0(VALU_DEP_1) | instskip(SKIP_1) | instid1(VALU_DEP_2)
	v_dual_sub_f32 v15, v13, v3 :: v_dual_add_f32 v14, v14, v176
	v_dual_sub_f32 v199, v3, v162 :: v_dual_add_f32 v12, v12, v175
	v_add_f32_e32 v178, v14, v175
	v_add_f32_e32 v14, v3, v162
	v_sub_f32_e32 v3, v3, v13
	v_add_f32_e32 v13, v13, v173
	s_delay_alu instid0(VALU_DEP_3) | instskip(SKIP_1) | instid1(VALU_DEP_3)
	v_fma_f32 v181, -0.5, v14, v9
	v_sub_f32_e32 v174, v175, v176
	v_fma_f32 v9, -0.5, v13, v9
	v_dual_sub_f32 v176, v176, v175 :: v_dual_sub_f32 v175, v173, v162
	v_fma_f32 v8, -0.5, v12, v8
	v_fmamk_f32 v183, v198, 0xbf737871, v181
	s_delay_alu instid0(VALU_DEP_4) | instskip(NEXT) | instid1(VALU_DEP_4)
	v_fmamk_f32 v231, v197, 0x3f737871, v9
	v_dual_fmac_f32 v9, 0xbf737871, v197 :: v_dual_add_f32 v14, v15, v175
	s_delay_alu instid0(VALU_DEP_4) | instskip(NEXT) | instid1(VALU_DEP_4)
	v_fmamk_f32 v230, v199, 0xbf737871, v8
	v_fmac_f32_e32 v183, 0xbf167918, v197
	s_delay_alu instid0(VALU_DEP_4) | instskip(SKIP_3) | instid1(VALU_DEP_3)
	v_dual_sub_f32 v162, v162, v173 :: v_dual_fmac_f32 v231, 0xbf167918, v198
	v_dual_fmamk_f32 v182, v200, 0x3f737871, v180 :: v_dual_fmac_f32 v181, 0x3f737871, v198
	v_fmac_f32_e32 v8, 0x3f737871, v199
	v_dual_fmac_f32 v180, 0xbf737871, v200 :: v_dual_add_f32 v173, v160, v174
	v_dual_fmac_f32 v182, 0x3f167918, v199 :: v_dual_fmac_f32 v9, 0x3f167918, v198
	s_delay_alu instid0(VALU_DEP_4)
	v_dual_fmac_f32 v230, 0x3f167918, v200 :: v_dual_fmac_f32 v181, 0x3f167918, v197
	v_fmac_f32_e32 v183, 0x3e9e377a, v14
	v_add_f32_e32 v13, v3, v162
	v_add_f32_e32 v12, v163, v176
	v_fmac_f32_e32 v8, 0xbf167918, v200
	v_dual_fmac_f32 v180, 0xbf167918, v199 :: v_dual_sub_f32 v15, v170, v168
	v_dual_fmac_f32 v182, 0x3e9e377a, v173 :: v_dual_fmac_f32 v181, 0x3e9e377a, v14
	s_delay_alu instid0(VALU_DEP_4) | instskip(NEXT) | instid1(VALU_DEP_4)
	v_dual_fmac_f32 v231, 0x3e9e377a, v13 :: v_dual_fmac_f32 v230, 0x3e9e377a, v12
	v_dual_fmac_f32 v9, 0x3e9e377a, v13 :: v_dual_fmac_f32 v8, 0x3e9e377a, v12
	s_delay_alu instid0(VALU_DEP_4)
	v_dual_fmac_f32 v180, 0x3e9e377a, v173 :: v_dual_sub_f32 v13, v170, v167
	v_add_nc_u32_e32 v3, 0x1000, v255
	ds_load_b64 v[232:233], v255 offset:4624
	ds_load_2addr_b64 v[189:192], v255 offset0:34 offset1:51
	ds_load_2addr_b64 v[160:163], v255 offset0:170 offset1:187
	;; [unrolled: 1-line block ×10, first 2 shown]
	ds_store_b64 v254, v[182:183] offset:952
	ds_store_b64 v254, v[230:231] offset:1904
	;; [unrolled: 1-line block ×4, first 2 shown]
	v_dual_add_f32 v8, v10, v170 :: v_dual_add_f32 v9, v11, v169
	v_dual_sub_f32 v173, v165, v171 :: v_dual_sub_f32 v12, v167, v172
	v_add_f32_e32 v14, v170, v168
	s_delay_alu instid0(VALU_DEP_3) | instskip(NEXT) | instid1(VALU_DEP_1)
	v_dual_add_f32 v8, v8, v167 :: v_dual_add_f32 v9, v9, v165
	v_dual_add_f32 v8, v8, v172 :: v_dual_add_f32 v9, v9, v171
	s_waitcnt lgkmcnt(8)
	s_delay_alu instid0(VALU_DEP_1) | instskip(NEXT) | instid1(VALU_DEP_2)
	v_dual_mul_f32 v199, v210, v147 :: v_dual_add_f32 v8, v8, v168
	v_add_f32_e32 v9, v9, v166
	s_delay_alu instid0(VALU_DEP_2)
	v_dual_fmac_f32 v199, v211, v146 :: v_dual_mul_f32 v198, v174, v151
	ds_store_2addr_b64 v255, v[178:179], v[8:9] offset1:17
	v_sub_f32_e32 v9, v167, v170
	v_add_f32_e32 v178, v169, v166
	v_add_f32_e32 v8, v167, v172
	v_dual_sub_f32 v167, v172, v168 :: v_dual_add_f32 v170, v165, v171
	v_sub_f32_e32 v179, v171, v166
	v_fmac_f32_e32 v198, v175, v150
	s_delay_alu instid0(VALU_DEP_4)
	v_fma_f32 v8, -0.5, v8, v10
	v_sub_f32_e32 v168, v168, v172
	v_fma_f32 v10, -0.5, v14, v10
	v_add_f32_e32 v14, v9, v167
	v_sub_f32_e32 v172, v165, v169
	v_sub_f32_e32 v165, v169, v165
	v_dual_sub_f32 v169, v169, v166 :: v_dual_sub_f32 v166, v166, v171
	v_fma_f32 v9, -0.5, v170, v11
	v_fmamk_f32 v167, v173, 0xbf737871, v10
	v_fmac_f32_e32 v10, 0x3f737871, v173
	s_delay_alu instid0(VALU_DEP_4) | instskip(SKIP_4) | instid1(VALU_DEP_4)
	v_dual_sub_f32 v234, v186, v199 :: v_dual_add_f32 v171, v165, v166
	v_fmamk_f32 v165, v169, 0x3f737871, v8
	v_dual_add_f32 v13, v13, v168 :: v_dual_fmamk_f32 v166, v15, 0xbf737871, v9
	v_fmac_f32_e32 v167, 0x3f167918, v169
	v_fmac_f32_e32 v9, 0x3f737871, v15
	v_fmac_f32_e32 v165, 0x3f167918, v173
	v_dual_fmac_f32 v11, -0.5, v178 :: v_dual_fmac_f32 v8, 0xbf737871, v169
	v_fmac_f32_e32 v166, 0xbf167918, v12
	v_dual_fmac_f32 v167, 0x3e9e377a, v14 :: v_dual_add_f32 v170, v172, v179
	s_delay_alu instid0(VALU_DEP_4) | instskip(NEXT) | instid1(VALU_DEP_4)
	v_fmac_f32_e32 v165, 0x3e9e377a, v13
	v_fmamk_f32 v168, v12, 0x3f737871, v11
	v_fmac_f32_e32 v11, 0xbf737871, v12
	v_fmac_f32_e32 v8, 0xbf167918, v173
	;; [unrolled: 1-line block ×4, first 2 shown]
	s_delay_alu instid0(VALU_DEP_4) | instskip(NEXT) | instid1(VALU_DEP_4)
	v_fmac_f32_e32 v11, 0x3f167918, v15
	v_fmac_f32_e32 v8, 0x3e9e377a, v13
	s_waitcnt vmcnt(0)
	v_dual_fmac_f32 v10, 0x3e9e377a, v14 :: v_dual_mul_f32 v13, v232, v159
	s_delay_alu instid0(VALU_DEP_3) | instskip(NEXT) | instid1(VALU_DEP_2)
	v_dual_fmac_f32 v166, 0x3e9e377a, v171 :: v_dual_fmac_f32 v11, 0x3e9e377a, v170
	v_dual_fmac_f32 v168, 0xbf167918, v15 :: v_dual_fmac_f32 v13, v233, v158
	ds_store_b64 v254, v[165:166] offset:1088
	ds_store_b64 v254, v[10:11] offset:2992
	v_dual_mul_f32 v10, v233, v159 :: v_dual_sub_f32 v11, v199, v188
	v_dual_fmac_f32 v168, 0x3e9e377a, v170 :: v_dual_fmac_f32 v9, 0x3e9e377a, v171
	ds_store_b64 v254, v[167:168] offset:2040
	ds_store_b64 v254, v[8:9] offset:3944
	v_fma_f32 v12, v232, v158, -v10
	v_sub_f32_e32 v10, v186, v198
	s_delay_alu instid0(VALU_DEP_1) | instskip(SKIP_2) | instid1(VALU_DEP_1)
	v_add_f32_e32 v200, v10, v11
	s_waitcnt lgkmcnt(9)
	v_mul_f32_e32 v10, v229, v157
	v_fma_f32 v201, v228, v156, -v10
	v_mul_f32_e32 v10, v209, v153
	s_delay_alu instid0(VALU_DEP_2) | instskip(NEXT) | instid1(VALU_DEP_2)
	v_dual_mul_f32 v228, v228, v157 :: v_dual_sub_f32 v165, v201, v12
	v_fma_f32 v202, v208, v152, -v10
	v_mul_f32_e32 v8, v175, v151
	s_delay_alu instid0(VALU_DEP_3) | instskip(NEXT) | instid1(VALU_DEP_3)
	v_dual_fmac_f32 v228, v229, v156 :: v_dual_mul_f32 v229, v208, v153
	v_dual_add_f32 v10, v4, v201 :: v_dual_add_f32 v11, v202, v12
	s_delay_alu instid0(VALU_DEP_3) | instskip(NEXT) | instid1(VALU_DEP_3)
	v_fma_f32 v14, v174, v150, -v8
	v_dual_mul_f32 v8, v211, v147 :: v_dual_fmac_f32 v229, v209, v152
	v_add_f32_e32 v230, v6, v202
	s_delay_alu instid0(VALU_DEP_4)
	v_fma_f32 v10, -0.5, v10, v6
	v_fma_f32 v6, -0.5, v11, v6
	v_sub_f32_e32 v11, v4, v202
	v_fma_f32 v15, v210, v146, -v8
	v_sub_f32_e32 v8, v185, v14
	v_dual_add_f32 v232, v7, v229 :: v_dual_sub_f32 v237, v14, v187
	s_delay_alu instid0(VALU_DEP_4) | instskip(NEXT) | instid1(VALU_DEP_4)
	v_add_f32_e32 v231, v11, v165
	v_sub_f32_e32 v235, v185, v15
	v_sub_f32_e32 v9, v15, v187
	v_add_f32_e32 v11, v5, v228
	v_add_f32_e32 v165, v229, v13
	v_sub_f32_e32 v239, v4, v201
	v_sub_f32_e32 v241, v202, v12
	v_dual_add_f32 v197, v8, v9 :: v_dual_add_f32 v8, v14, v187
	v_add_f32_e32 v9, v198, v188
	v_fma_f32 v11, -0.5, v11, v7
	v_fmac_f32_e32 v7, -0.5, v165
	v_sub_f32_e32 v165, v5, v229
	v_fma_f32 v8, -0.5, v8, v189
	v_fma_f32 v9, -0.5, v9, v190
	v_sub_f32_e32 v166, v228, v13
	v_dual_sub_f32 v238, v5, v228 :: v_dual_fmamk_f32 v211, v239, 0x3f737871, v7
	s_delay_alu instid0(VALU_DEP_4) | instskip(NEXT) | instid1(VALU_DEP_4)
	v_fmamk_f32 v208, v234, 0x3f737871, v8
	v_fmamk_f32 v209, v235, 0xbf737871, v9
	v_fmac_f32_e32 v9, 0x3f737871, v235
	v_dual_fmac_f32 v8, 0xbf737871, v234 :: v_dual_fmac_f32 v7, 0xbf737871, v239
	v_sub_f32_e32 v236, v198, v188
	v_fmamk_f32 v210, v238, 0xbf737871, v6
	s_delay_alu instid0(VALU_DEP_4)
	v_fmac_f32_e32 v9, 0x3f167918, v237
	v_fmac_f32_e32 v6, 0x3f737871, v238
	v_sub_f32_e32 v240, v229, v13
	v_dual_add_f32 v233, v165, v166 :: v_dual_fmac_f32 v8, 0xbf167918, v236
	v_fmac_f32_e32 v7, 0x3f167918, v241
	v_fmac_f32_e32 v9, 0x3e9e377a, v200
	s_delay_alu instid0(VALU_DEP_4) | instskip(NEXT) | instid1(VALU_DEP_4)
	v_dual_fmac_f32 v6, 0xbf167918, v240 :: v_dual_fmac_f32 v209, 0xbf167918, v237
	v_fmac_f32_e32 v8, 0x3e9e377a, v197
	s_delay_alu instid0(VALU_DEP_4) | instskip(SKIP_1) | instid1(VALU_DEP_4)
	v_fmac_f32_e32 v7, 0x3e9e377a, v233
	v_fmac_f32_e32 v211, 0xbf167918, v241
	v_dual_fmac_f32 v6, 0x3e9e377a, v231 :: v_dual_fmac_f32 v209, 0x3e9e377a, v200
	s_delay_alu instid0(VALU_DEP_2) | instskip(SKIP_3) | instid1(VALU_DEP_1)
	v_fmac_f32_e32 v211, 0x3e9e377a, v233
	ds_store_2addr_b64 v2, v[6:7], v[8:9] offset0:203 offset1:254
	scratch_load_b32 v6, off, off offset:476 ; 4-byte Folded Reload
	v_dual_sub_f32 v8, v198, v186 :: v_dual_sub_f32 v9, v188, v199
	v_add_f32_e32 v250, v8, v9
	s_waitcnt vmcnt(0)
	v_lshlrev_b32_e32 v6, 5, v6
	s_clause 0x1
	global_load_b128 v[172:175], v6, s[10:11] offset:896
	global_load_b128 v[180:183], v6, s[10:11] offset:912
	s_waitcnt vmcnt(1)
	v_dual_mul_f32 v6, v177, v175 :: v_dual_mul_f32 v245, v160, v173
	v_mul_f32_e32 v243, v176, v175
	v_mul_f32_e32 v7, v161, v173
	s_delay_alu instid0(VALU_DEP_3)
	v_fma_f32 v242, v176, v174, -v6
	s_waitcnt vmcnt(0)
	v_mul_f32_e32 v6, v213, v183
	v_fmac_f32_e32 v243, v177, v174
	v_fmac_f32_e32 v245, v161, v172
	;; [unrolled: 1-line block ×3, first 2 shown]
	s_delay_alu instid0(VALU_DEP_4)
	v_fma_f32 v244, v212, v182, -v6
	scratch_load_b32 v6, off, off offset:472 ; 4-byte Folded Reload
	v_dual_add_f32 v253, v192, v245 :: v_dual_fmac_f32 v210, 0x3e9e377a, v231
	s_waitcnt vmcnt(0)
	v_lshlrev_b32_e32 v6, 5, v6
	s_clause 0x1
	global_load_b128 v[176:179], v6, s[10:11] offset:896
	global_load_b128 v[168:171], v6, s[10:11] offset:912
	s_waitcnt vmcnt(1)
	v_mul_f32_e32 v6, v163, v177
	v_dual_mul_f32 v247, v162, v177 :: v_dual_mul_f32 v212, v212, v183
	s_waitcnt vmcnt(0)
	v_mul_f32_e32 v21, v223, v171
	s_delay_alu instid0(VALU_DEP_3) | instskip(NEXT) | instid1(VALU_DEP_3)
	v_fma_f32 v246, v162, v176, -v6
	v_fmac_f32_e32 v247, v163, v176
	v_mul_f32_e32 v6, v215, v181
	v_fmac_f32_e32 v212, v213, v182
	v_fma_f32 v213, v160, v172, -v7
	v_sub_f32_e32 v7, v187, v15
	v_fma_f32 v21, v222, v170, -v21
	v_fma_f32 v248, v214, v180, -v6
	v_mul_f32_e32 v214, v214, v181
	v_mul_f32_e32 v6, v217, v169
	v_add_f32_e32 v9, v213, v244
	v_add_f32_e32 v251, v191, v213
	v_sub_f32_e32 v203, v248, v244
	v_fmac_f32_e32 v214, v215, v180
	v_fma_f32 v215, v216, v168, -v6
	v_mul_f32_e32 v216, v216, v169
	v_add_nc_u32_e32 v6, 0xaa0, v164
	v_add_f32_e32 v8, v242, v248
	v_sub_f32_e32 v18, v242, v248
	s_delay_alu instid0(VALU_DEP_4) | instskip(NEXT) | instid1(VALU_DEP_3)
	v_fmac_f32_e32 v216, v217, v168
	v_fma_f32 v8, -0.5, v8, v191
	v_fma_f32 v191, -0.5, v9, v191
	v_sub_f32_e32 v9, v242, v213
	s_clause 0x1
	global_load_b128 v[164:167], v6, s[10:11] offset:896
	global_load_b128 v[160:163], v6, s[10:11] offset:912
	s_waitcnt vmcnt(1)
	v_dual_add_f32 v252, v9, v203 :: v_dual_mul_f32 v249, v206, v165
	v_dual_mul_f32 v6, v207, v165 :: v_dual_add_f32 v203, v245, v212
	v_sub_f32_e32 v19, v245, v212
	s_waitcnt vmcnt(0)
	v_mul_f32_e32 v23, v225, v163
	v_fmac_f32_e32 v249, v207, v164
	v_fma_f32 v217, v206, v164, -v6
	v_mul_f32_e32 v6, v219, v179
	s_delay_alu instid0(VALU_DEP_4) | instskip(NEXT) | instid1(VALU_DEP_2)
	v_fma_f32 v23, v224, v162, -v23
	v_fma_f32 v207, v218, v178, -v6
	v_mul_f32_e32 v218, v218, v179
	v_mul_f32_e32 v6, v221, v167
	s_delay_alu instid0(VALU_DEP_2) | instskip(NEXT) | instid1(VALU_DEP_2)
	v_fmac_f32_e32 v218, v219, v178
	v_fma_f32 v219, v220, v166, -v6
	v_mul_f32_e32 v220, v220, v167
	v_mul_f32_e32 v6, v227, v161
	s_delay_alu instid0(VALU_DEP_2) | instskip(NEXT) | instid1(VALU_DEP_2)
	v_fmac_f32_e32 v220, v221, v166
	v_fma_f32 v221, v226, v160, -v6
	v_mul_f32_e32 v226, v226, v161
	v_sub_f32_e32 v6, v14, v185
	s_delay_alu instid0(VALU_DEP_1) | instskip(SKIP_4) | instid1(VALU_DEP_4)
	v_dual_fmac_f32 v226, v227, v160 :: v_dual_add_f32 v227, v6, v7
	v_add_f32_e32 v7, v186, v199
	v_add_f32_e32 v9, v243, v214
	v_dual_sub_f32 v17, v243, v214 :: v_dual_sub_f32 v204, v214, v212
	v_sub_f32_e32 v20, v213, v244
	v_fma_f32 v7, -0.5, v7, v190
	s_delay_alu instid0(VALU_DEP_4) | instskip(SKIP_2) | instid1(VALU_DEP_2)
	v_fma_f32 v9, -0.5, v9, v192
	v_dual_fmac_f32 v192, -0.5, v203 :: v_dual_sub_f32 v203, v243, v245
	v_fmamk_f32 v205, v17, 0xbf737871, v191
	v_dual_fmac_f32 v191, 0x3f737871, v17 :: v_dual_fmamk_f32 v206, v18, 0x3f737871, v192
	s_delay_alu instid0(VALU_DEP_3) | instskip(SKIP_2) | instid1(VALU_DEP_4)
	v_add_f32_e32 v16, v203, v204
	v_fmamk_f32 v204, v237, 0x3f737871, v7
	v_fmac_f32_e32 v7, 0xbf737871, v237
	v_fmac_f32_e32 v191, 0xbf167918, v19
	;; [unrolled: 1-line block ×4, first 2 shown]
	s_delay_alu instid0(VALU_DEP_4) | instskip(NEXT) | instid1(VALU_DEP_4)
	v_fmac_f32_e32 v7, 0x3f167918, v235
	v_dual_fmac_f32 v191, 0x3e9e377a, v252 :: v_dual_add_f32 v6, v185, v15
	s_delay_alu instid0(VALU_DEP_4) | instskip(NEXT) | instid1(VALU_DEP_3)
	v_fmac_f32_e32 v192, 0x3f167918, v20
	v_fmac_f32_e32 v7, 0x3e9e377a, v250
	s_delay_alu instid0(VALU_DEP_3) | instskip(NEXT) | instid1(VALU_DEP_3)
	v_fma_f32 v6, -0.5, v6, v189
	v_fmac_f32_e32 v192, 0x3e9e377a, v16
	s_delay_alu instid0(VALU_DEP_2) | instskip(SKIP_1) | instid1(VALU_DEP_2)
	v_fmamk_f32 v203, v236, 0xbf737871, v6
	v_fmac_f32_e32 v6, 0x3f737871, v236
	v_fmac_f32_e32 v203, 0x3f167918, v234
	s_delay_alu instid0(VALU_DEP_2) | instskip(NEXT) | instid1(VALU_DEP_2)
	v_fmac_f32_e32 v6, 0xbf167918, v234
	v_fmac_f32_e32 v203, 0x3e9e377a, v227
	s_delay_alu instid0(VALU_DEP_2) | instskip(SKIP_4) | instid1(VALU_DEP_3)
	v_fmac_f32_e32 v6, 0x3e9e377a, v227
	ds_store_2addr_b64 v2, v[6:7], v[191:192] offset0:135 offset1:152
	v_dual_add_f32 v7, v190, v186 :: v_dual_add_f32 v6, v189, v185
	v_dual_mul_f32 v191, v224, v163 :: v_dual_sub_f32 v192, v218, v216
	v_fmac_f32_e32 v205, 0x3e9e377a, v252
	v_add_f32_e32 v7, v7, v198
	s_delay_alu instid0(VALU_DEP_4) | instskip(SKIP_2) | instid1(VALU_DEP_4)
	v_add_f32_e32 v6, v6, v14
	v_add_f32_e32 v14, v251, v242
	v_dual_fmac_f32 v191, v225, v162 :: v_dual_sub_f32 v198, v246, v21
	v_add_f32_e32 v7, v7, v188
	s_delay_alu instid0(VALU_DEP_3) | instskip(NEXT) | instid1(VALU_DEP_3)
	v_add_f32_e32 v14, v14, v248
	v_sub_f32_e32 v189, v226, v191
	s_delay_alu instid0(VALU_DEP_3) | instskip(SKIP_1) | instid1(VALU_DEP_4)
	v_add_f32_e32 v7, v7, v199
	v_add_f32_e32 v6, v6, v187
	v_dual_add_f32 v185, v14, v244 :: v_dual_sub_f32 v14, v245, v243
	s_delay_alu instid0(VALU_DEP_2) | instskip(SKIP_1) | instid1(VALU_DEP_1)
	v_dual_add_f32 v199, v195, v217 :: v_dual_add_f32 v6, v6, v15
	v_add_f32_e32 v15, v253, v243
	v_dual_add_f32 v15, v15, v214 :: v_dual_mul_f32 v22, v222, v171
	v_fmac_f32_e32 v206, 0xbf167918, v20
	s_delay_alu instid0(VALU_DEP_2) | instskip(NEXT) | instid1(VALU_DEP_2)
	v_dual_add_f32 v186, v15, v212 :: v_dual_sub_f32 v15, v212, v214
	v_fmac_f32_e32 v206, 0x3e9e377a, v16
	v_sub_f32_e32 v16, v218, v247
	ds_store_2addr_b64 v255, v[6:7], v[185:186] offset0:34 offset1:51
	v_dual_sub_f32 v6, v213, v242 :: v_dual_sub_f32 v7, v244, v248
	s_delay_alu instid0(VALU_DEP_1) | instskip(SKIP_3) | instid1(VALU_DEP_4)
	v_dual_add_f32 v187, v6, v7 :: v_dual_fmamk_f32 v6, v19, 0x3f737871, v8
	v_dual_fmamk_f32 v7, v20, 0xbf737871, v9 :: v_dual_fmac_f32 v22, v223, v170
	v_fmac_f32_e32 v208, 0x3f167918, v236
	v_fmac_f32_e32 v8, 0xbf737871, v19
	;; [unrolled: 1-line block ×3, first 2 shown]
	s_delay_alu instid0(VALU_DEP_4) | instskip(NEXT) | instid1(VALU_DEP_4)
	v_fmac_f32_e32 v7, 0xbf167918, v18
	v_dual_sub_f32 v185, v216, v22 :: v_dual_fmac_f32 v208, 0x3e9e377a, v197
	v_sub_f32_e32 v197, v207, v215
	v_add_f32_e32 v14, v14, v15
	v_sub_f32_e32 v188, v247, v22
	s_delay_alu instid0(VALU_DEP_4) | instskip(SKIP_3) | instid1(VALU_DEP_2)
	v_add_f32_e32 v16, v16, v185
	v_fmac_f32_e32 v6, 0x3e9e377a, v187
	v_fmac_f32_e32 v9, 0x3f737871, v20
	v_dual_fmac_f32 v7, 0x3e9e377a, v14 :: v_dual_add_f32 v200, v196, v249
	v_fmac_f32_e32 v9, 0x3f167918, v18
	ds_store_2addr_b64 v255, v[208:209], v[6:7] offset0:153 offset1:170
	v_sub_f32_e32 v6, v207, v246
	v_sub_f32_e32 v7, v215, v21
	v_dual_sub_f32 v209, v217, v23 :: v_dual_sub_f32 v208, v219, v221
	v_dual_fmac_f32 v8, 0xbf167918, v17 :: v_dual_sub_f32 v17, v21, v215
	s_delay_alu instid0(VALU_DEP_3) | instskip(SKIP_2) | instid1(VALU_DEP_2)
	v_add_f32_e32 v15, v6, v7
	v_dual_add_f32 v7, v247, v22 :: v_dual_add_f32 v6, v246, v21
	v_sub_f32_e32 v18, v22, v216
	v_fma_f32 v7, -0.5, v7, v194
	s_delay_alu instid0(VALU_DEP_3) | instskip(NEXT) | instid1(VALU_DEP_2)
	v_fma_f32 v6, -0.5, v6, v193
	v_fmamk_f32 v186, v197, 0x3f737871, v7
	v_fmac_f32_e32 v7, 0xbf737871, v197
	s_delay_alu instid0(VALU_DEP_3)
	v_fmamk_f32 v185, v192, 0xbf737871, v6
	v_fmac_f32_e32 v6, 0x3f737871, v192
	v_fmac_f32_e32 v9, 0x3e9e377a, v14
	;; [unrolled: 1-line block ×6, first 2 shown]
	s_delay_alu instid0(VALU_DEP_4) | instskip(NEXT) | instid1(VALU_DEP_4)
	v_fmac_f32_e32 v186, 0x3e9e377a, v16
	v_dual_fmac_f32 v7, 0x3e9e377a, v16 :: v_dual_add_f32 v16, v217, v23
	s_delay_alu instid0(VALU_DEP_4) | instskip(NEXT) | instid1(VALU_DEP_4)
	v_fmac_f32_e32 v185, 0x3e9e377a, v15
	v_dual_fmac_f32 v6, 0x3e9e377a, v15 :: v_dual_add_f32 v15, v219, v221
	ds_store_2addr_b64 v2, v[205:206], v[185:186] offset0:33 offset1:50
	v_sub_f32_e32 v205, v220, v226
	v_fma_f32 v185, -0.5, v15, v195
	v_fma_f32 v195, -0.5, v16, v195
	v_dual_sub_f32 v15, v219, v217 :: v_dual_sub_f32 v16, v221, v23
	s_delay_alu instid0(VALU_DEP_1) | instskip(NEXT) | instid1(VALU_DEP_1)
	v_dual_add_f32 v15, v15, v16 :: v_dual_add_f32 v16, v220, v226
	v_fma_f32 v186, -0.5, v16, v196
	v_add_f32_e32 v16, v249, v191
	v_sub_f32_e32 v14, v246, v207
	s_delay_alu instid0(VALU_DEP_2) | instskip(NEXT) | instid1(VALU_DEP_2)
	v_fmac_f32_e32 v196, -0.5, v16
	v_dual_add_f32 v14, v14, v17 :: v_dual_sub_f32 v17, v247, v218
	v_sub_f32_e32 v16, v220, v249
	v_fmac_f32_e32 v8, 0x3e9e377a, v187
	s_delay_alu instid0(VALU_DEP_4) | instskip(NEXT) | instid1(VALU_DEP_4)
	v_fmamk_f32 v190, v208, 0x3f737871, v196
	v_dual_fmac_f32 v196, 0xbf737871, v208 :: v_dual_add_f32 v17, v17, v18
	s_delay_alu instid0(VALU_DEP_4) | instskip(SKIP_1) | instid1(VALU_DEP_3)
	v_dual_add_f32 v16, v16, v189 :: v_dual_fmamk_f32 v189, v205, 0xbf737871, v195
	v_dual_fmac_f32 v195, 0x3f737871, v205 :: v_dual_sub_f32 v206, v249, v191
	v_fmac_f32_e32 v196, 0x3f167918, v209
	s_delay_alu instid0(VALU_DEP_2) | instskip(NEXT) | instid1(VALU_DEP_1)
	v_fmac_f32_e32 v195, 0xbf167918, v206
	v_dual_fmac_f32 v196, 0x3e9e377a, v16 :: v_dual_fmac_f32 v195, 0x3e9e377a, v15
	ds_store_2addr_b64 v2, v[6:7], v[195:196] offset0:169 offset1:186
	v_dual_add_f32 v6, v207, v215 :: v_dual_add_f32 v7, v218, v216
	s_delay_alu instid0(VALU_DEP_1) | instskip(NEXT) | instid1(VALU_DEP_2)
	v_fma_f32 v6, -0.5, v6, v193
	v_fma_f32 v7, -0.5, v7, v194
	v_dual_add_f32 v193, v193, v246 :: v_dual_add_f32 v194, v194, v247
	s_delay_alu instid0(VALU_DEP_3) | instskip(SKIP_1) | instid1(VALU_DEP_4)
	v_fmamk_f32 v187, v188, 0x3f737871, v6
	v_fmac_f32_e32 v6, 0xbf737871, v188
	v_fmamk_f32 v188, v198, 0xbf737871, v7
	v_fmac_f32_e32 v7, 0x3f737871, v198
	s_delay_alu instid0(VALU_DEP_4) | instskip(NEXT) | instid1(VALU_DEP_4)
	v_fmac_f32_e32 v187, 0x3f167918, v192
	v_fmac_f32_e32 v6, 0xbf167918, v192
	s_delay_alu instid0(VALU_DEP_4) | instskip(NEXT) | instid1(VALU_DEP_4)
	v_fmac_f32_e32 v188, 0xbf167918, v197
	v_fmac_f32_e32 v7, 0x3f167918, v197
	s_delay_alu instid0(VALU_DEP_4) | instskip(NEXT) | instid1(VALU_DEP_2)
	v_fmac_f32_e32 v187, 0x3e9e377a, v14
	v_dual_fmac_f32 v6, 0x3e9e377a, v14 :: v_dual_fmac_f32 v7, 0x3e9e377a, v17
	v_fmac_f32_e32 v189, 0x3f167918, v206
	ds_store_2addr_b64 v3, v[8:9], v[6:7] offset0:15 offset1:32
	v_dual_add_f32 v6, v193, v207 :: v_dual_add_f32 v7, v194, v218
	v_dual_add_f32 v8, v199, v219 :: v_dual_add_f32 v9, v200, v220
	v_fmac_f32_e32 v189, 0x3e9e377a, v15
	s_delay_alu instid0(VALU_DEP_3) | instskip(NEXT) | instid1(VALU_DEP_3)
	v_dual_add_f32 v6, v6, v215 :: v_dual_add_f32 v7, v7, v216
	v_dual_add_f32 v8, v8, v221 :: v_dual_add_f32 v9, v9, v226
	v_fmac_f32_e32 v190, 0xbf167918, v209
	s_delay_alu instid0(VALU_DEP_3) | instskip(NEXT) | instid1(VALU_DEP_3)
	v_dual_add_f32 v6, v6, v21 :: v_dual_add_f32 v7, v7, v22
	v_add_f32_e32 v8, v8, v23
	s_delay_alu instid0(VALU_DEP_3)
	v_dual_add_f32 v9, v9, v191 :: v_dual_fmac_f32 v190, 0x3e9e377a, v16
	ds_store_2addr_b64 v255, v[6:7], v[8:9] offset0:68 offset1:85
	v_dual_sub_f32 v6, v217, v219 :: v_dual_sub_f32 v7, v23, v221
	v_dual_sub_f32 v8, v249, v220 :: v_dual_sub_f32 v9, v191, v226
	ds_store_2addr_b64 v2, v[189:190], v[210:211] offset0:67 offset1:84
	v_add_f32_e32 v14, v6, v7
	v_fmamk_f32 v6, v206, 0x3f737871, v185
	v_dual_fmamk_f32 v7, v209, 0xbf737871, v186 :: v_dual_add_f32 v8, v8, v9
	v_fmac_f32_e32 v185, 0xbf737871, v206
	v_fmac_f32_e32 v204, 0xbf167918, v235
	s_delay_alu instid0(VALU_DEP_4) | instskip(NEXT) | instid1(VALU_DEP_4)
	v_fmac_f32_e32 v6, 0x3f167918, v205
	v_fmac_f32_e32 v7, 0xbf167918, v208
	;; [unrolled: 1-line block ×5, first 2 shown]
	s_delay_alu instid0(VALU_DEP_4) | instskip(NEXT) | instid1(VALU_DEP_4)
	v_dual_fmac_f32 v6, 0x3e9e377a, v14 :: v_dual_fmac_f32 v7, 0x3e9e377a, v8
	v_fmac_f32_e32 v186, 0x3f167918, v208
	s_delay_alu instid0(VALU_DEP_4) | instskip(SKIP_4) | instid1(VALU_DEP_3)
	v_fmac_f32_e32 v185, 0x3e9e377a, v14
	ds_store_2addr_b64 v255, v[187:188], v[6:7] offset0:187 offset1:204
	v_dual_sub_f32 v6, v202, v4 :: v_dual_sub_f32 v7, v12, v201
	v_add_f32_e32 v4, v230, v4
	v_add_nc_u32_e32 v188, 0x400, v255
	v_dual_add_f32 v9, v6, v7 :: v_dual_sub_f32 v6, v229, v5
	v_sub_f32_e32 v7, v13, v228
	v_add_f32_e32 v5, v232, v5
	s_delay_alu instid0(VALU_DEP_2) | instskip(SKIP_4) | instid1(VALU_DEP_4)
	v_dual_add_f32 v4, v4, v201 :: v_dual_add_f32 v17, v6, v7
	v_fmamk_f32 v6, v240, 0x3f737871, v10
	v_dual_fmamk_f32 v7, v241, 0xbf737871, v11 :: v_dual_fmac_f32 v10, 0xbf737871, v240
	v_fmac_f32_e32 v11, 0x3f737871, v241
	v_dual_add_f32 v5, v5, v228 :: v_dual_fmac_f32 v204, 0x3e9e377a, v250
	v_fmac_f32_e32 v6, 0x3f167918, v238
	s_delay_alu instid0(VALU_DEP_4) | instskip(NEXT) | instid1(VALU_DEP_4)
	v_dual_fmac_f32 v7, 0xbf167918, v239 :: v_dual_fmac_f32 v10, 0xbf167918, v238
	v_dual_fmac_f32 v11, 0x3f167918, v239 :: v_dual_add_f32 v4, v4, v12
	s_delay_alu instid0(VALU_DEP_4) | instskip(NEXT) | instid1(VALU_DEP_4)
	v_add_f32_e32 v5, v5, v13
	v_fmac_f32_e32 v6, 0x3e9e377a, v9
	s_delay_alu instid0(VALU_DEP_4)
	v_dual_fmac_f32 v7, 0x3e9e377a, v17 :: v_dual_fmac_f32 v186, 0x3e9e377a, v8
	v_fmac_f32_e32 v10, 0x3e9e377a, v9
	v_fmac_f32_e32 v11, 0x3e9e377a, v17
	ds_store_b64 v255, v[4:5] offset:816
	v_lshlrev_b32_e32 v4, 3, v24
	ds_store_2addr_b64 v188, v[6:7], v[203:204] offset0:93 offset1:144
	ds_store_2addr_b64 v3, v[185:186], v[10:11] offset0:49 offset1:66
	s_waitcnt lgkmcnt(0)
	s_waitcnt_vscnt null, 0x0
	s_barrier
	buffer_gl0_inv
	s_clause 0x1
	global_load_b64 v[9:10], v4, s[8:9] offset:136
	global_load_b64 v[185:186], v4, s[8:9] offset:272
	scratch_load_b32 v5, off, off offset:464 ; 4-byte Folded Reload
	s_waitcnt vmcnt(0)
	s_clause 0x1
	global_load_b64 v[189:190], v5, s[8:9]
	global_load_b64 v[191:192], v4, s[8:9]
	ds_load_2addr_b64 v[5:8], v255 offset1:17
	s_waitcnt vmcnt(0) lgkmcnt(0)
	v_mul_f32_e32 v11, v6, v192
	v_mul_f32_e32 v194, v5, v192
	;; [unrolled: 1-line block ×3, first 2 shown]
	s_delay_alu instid0(VALU_DEP_3) | instskip(NEXT) | instid1(VALU_DEP_3)
	v_fma_f32 v193, v5, v191, -v11
	v_dual_mul_f32 v5, v8, v10 :: v_dual_fmac_f32 v194, v6, v191
	s_delay_alu instid0(VALU_DEP_3) | instskip(NEXT) | instid1(VALU_DEP_2)
	v_fmac_f32_e32 v192, v8, v9
	v_fma_f32 v191, v7, v9, -v5
	s_clause 0x1
	global_load_b64 v[9:10], v4, s[8:9] offset:1360
	global_load_b64 v[195:196], v4, s[8:9] offset:1224
	ds_load_2addr_b64 v[5:8], v255 offset0:170 offset1:187
	s_waitcnt vmcnt(1) lgkmcnt(0)
	v_mul_f32_e32 v11, v6, v10
	v_mul_f32_e32 v204, v5, v10
	s_delay_alu instid0(VALU_DEP_2) | instskip(NEXT) | instid1(VALU_DEP_2)
	v_fma_f32 v203, v5, v9, -v11
	v_fmac_f32_e32 v204, v6, v9
	s_clause 0x7
	global_load_b64 v[5:6], v4, s[8:9] offset:1496
	global_load_b64 v[9:10], v4, s[8:9] offset:1632
	;; [unrolled: 1-line block ×8, first 2 shown]
	s_waitcnt vmcnt(7)
	v_mul_f32_e32 v11, v8, v6
	v_mul_f32_e32 v210, v7, v6
	s_delay_alu instid0(VALU_DEP_2) | instskip(NEXT) | instid1(VALU_DEP_2)
	v_fma_f32 v209, v7, v5, -v11
	v_fmac_f32_e32 v210, v8, v5
	ds_load_2addr_b64 v[5:8], v2 offset0:84 offset1:101
	s_waitcnt vmcnt(3) lgkmcnt(0)
	v_mul_f32_e32 v11, v6, v212
	v_mul_f32_e32 v220, v5, v212
	s_waitcnt vmcnt(2)
	v_mul_f32_e32 v212, v7, v214
	s_delay_alu instid0(VALU_DEP_3) | instskip(NEXT) | instid1(VALU_DEP_3)
	v_fma_f32 v219, v5, v211, -v11
	v_dual_mul_f32 v5, v8, v214 :: v_dual_fmac_f32 v220, v6, v211
	s_delay_alu instid0(VALU_DEP_3) | instskip(NEXT) | instid1(VALU_DEP_2)
	v_fmac_f32_e32 v212, v8, v213
	v_fma_f32 v211, v7, v213, -v5
	s_clause 0x1
	global_load_b64 v[213:214], v4, s[8:9] offset:4080
	global_load_b64 v[221:222], v4, s[8:9] offset:3944
	ds_load_2addr_b64 v[5:8], v184 offset0:126 offset1:143
	s_waitcnt vmcnt(1) lgkmcnt(0)
	v_mul_f32_e32 v11, v6, v214
	v_mul_f32_e32 v224, v5, v214
	s_delay_alu instid0(VALU_DEP_2) | instskip(SKIP_1) | instid1(VALU_DEP_3)
	v_fma_f32 v223, v5, v213, -v11
	v_add_co_u32 v5, s0, s8, v4
	v_fmac_f32_e32 v224, v6, v213
	v_add_co_ci_u32_e64 v6, null, s9, 0, s0
	s_delay_alu instid0(VALU_DEP_3) | instskip(NEXT) | instid1(VALU_DEP_1)
	v_add_co_u32 v5, s0, 0x1000, v5
	v_add_co_ci_u32_e64 v6, s0, 0, v6, s0
	s_clause 0x2
	global_load_b64 v[213:214], v[5:6], off offset:120
	global_load_b64 v[225:226], v[5:6], off offset:392
	;; [unrolled: 1-line block ×3, first 2 shown]
	s_waitcnt vmcnt(2)
	v_mul_f32_e32 v5, v8, v214
	v_mul_f32_e32 v230, v7, v214
	s_delay_alu instid0(VALU_DEP_2) | instskip(NEXT) | instid1(VALU_DEP_2)
	v_fma_f32 v229, v7, v213, -v5
	v_fmac_f32_e32 v230, v8, v213
	s_clause 0x1
	global_load_b64 v[213:214], v4, s[8:9] offset:816
	global_load_b64 v[231:232], v4, s[8:9] offset:680
	ds_load_2addr_b64 v[5:8], v255 offset0:102 offset1:119
	s_waitcnt vmcnt(1) lgkmcnt(0)
	v_mul_f32_e32 v11, v6, v214
	v_mul_f32_e32 v234, v5, v214
	s_delay_alu instid0(VALU_DEP_2) | instskip(NEXT) | instid1(VALU_DEP_2)
	v_fma_f32 v233, v5, v213, -v11
	v_fmac_f32_e32 v234, v6, v213
	s_clause 0x5
	global_load_b64 v[5:6], v4, s[8:9] offset:952
	global_load_b64 v[213:214], v4, s[8:9] offset:1088
	;; [unrolled: 1-line block ×6, first 2 shown]
	s_waitcnt vmcnt(5)
	v_mul_f32_e32 v11, v8, v6
	v_mul_f32_e32 v236, v7, v6
	s_delay_alu instid0(VALU_DEP_2) | instskip(NEXT) | instid1(VALU_DEP_2)
	v_fma_f32 v235, v7, v5, -v11
	v_fmac_f32_e32 v236, v8, v5
	ds_load_2addr_b64 v[5:8], v2 offset0:16 offset1:33
	s_waitcnt vmcnt(3) lgkmcnt(0)
	v_mul_f32_e32 v11, v6, v238
	v_mul_f32_e32 v246, v5, v238
	s_waitcnt vmcnt(2)
	v_mul_f32_e32 v238, v7, v240
	s_delay_alu instid0(VALU_DEP_3) | instskip(NEXT) | instid1(VALU_DEP_3)
	v_fma_f32 v245, v5, v237, -v11
	v_dual_mul_f32 v5, v8, v240 :: v_dual_fmac_f32 v246, v6, v237
	s_delay_alu instid0(VALU_DEP_3) | instskip(NEXT) | instid1(VALU_DEP_2)
	v_fmac_f32_e32 v238, v8, v239
	v_fma_f32 v237, v7, v239, -v5
	s_clause 0x1
	global_load_b64 v[239:240], v4, s[8:9] offset:3536
	global_load_b64 v[247:248], v4, s[8:9] offset:3400
	ds_load_2addr_b64 v[5:8], v2 offset0:186 offset1:203
	s_waitcnt vmcnt(1) lgkmcnt(0)
	v_mul_f32_e32 v11, v6, v240
	v_mul_f32_e32 v250, v5, v240
	s_delay_alu instid0(VALU_DEP_2) | instskip(NEXT) | instid1(VALU_DEP_2)
	v_fma_f32 v249, v5, v239, -v11
	v_fmac_f32_e32 v250, v6, v239
	s_clause 0x1
	global_load_b64 v[5:6], v4, s[8:9] offset:3672
	global_load_b64 v[239:240], v4, s[8:9] offset:3808
	s_waitcnt vmcnt(1)
	v_mul_f32_e32 v11, v8, v6
	v_mul_f32_e32 v252, v7, v6
	s_delay_alu instid0(VALU_DEP_2) | instskip(NEXT) | instid1(VALU_DEP_2)
	v_fma_f32 v251, v7, v5, -v11
	v_fmac_f32_e32 v252, v8, v5
	ds_load_2addr_b64 v[5:8], v255 offset0:34 offset1:51
	s_waitcnt lgkmcnt(0)
	v_mul_f32_e32 v11, v6, v186
	v_mul_f32_e32 v198, v5, v186
	s_delay_alu instid0(VALU_DEP_2) | instskip(NEXT) | instid1(VALU_DEP_2)
	v_fma_f32 v197, v5, v185, -v11
	v_fmac_f32_e32 v198, v6, v185
	s_clause 0x1
	global_load_b64 v[5:6], v4, s[8:9] offset:408
	global_load_b64 v[185:186], v4, s[8:9] offset:544
	s_waitcnt vmcnt(1)
	v_mul_f32_e32 v11, v8, v6
	v_mul_f32_e32 v200, v7, v6
	s_delay_alu instid0(VALU_DEP_2) | instskip(NEXT) | instid1(VALU_DEP_2)
	v_fma_f32 v199, v7, v5, -v11
	v_fmac_f32_e32 v200, v8, v5
	ds_load_2addr_b64 v[5:8], v255 offset0:204 offset1:221
	s_waitcnt lgkmcnt(0)
	v_mul_f32_e32 v11, v6, v10
	v_mul_f32_e32 v202, v5, v10
	;; [unrolled: 1-line block ×3, first 2 shown]
	s_delay_alu instid0(VALU_DEP_3) | instskip(NEXT) | instid1(VALU_DEP_3)
	v_fma_f32 v201, v5, v9, -v11
	v_dual_mul_f32 v5, v8, v206 :: v_dual_fmac_f32 v202, v6, v9
	s_delay_alu instid0(VALU_DEP_3) | instskip(NEXT) | instid1(VALU_DEP_2)
	v_fmac_f32_e32 v10, v8, v205
	v_fma_f32 v9, v7, v205, -v5
	ds_load_2addr_b64 v[5:8], v2 offset0:118 offset1:135
	s_waitcnt lgkmcnt(0)
	v_mul_f32_e32 v11, v6, v216
	v_mul_f32_e32 v206, v5, v216
	s_delay_alu instid0(VALU_DEP_2) | instskip(NEXT) | instid1(VALU_DEP_2)
	v_fma_f32 v205, v5, v215, -v11
	v_fmac_f32_e32 v206, v6, v215
	s_clause 0x1
	global_load_b64 v[5:6], v4, s[8:9] offset:3128
	global_load_b64 v[215:216], v4, s[8:9] offset:3264
	s_waitcnt vmcnt(1)
	v_mul_f32_e32 v4, v8, v6
	v_mul_f32_e32 v12, v7, v6
	s_delay_alu instid0(VALU_DEP_2) | instskip(NEXT) | instid1(VALU_DEP_2)
	v_fma_f32 v11, v7, v5, -v4
	v_fmac_f32_e32 v12, v8, v5
	ds_load_2addr_b64 v[4:7], v3 offset0:32 offset1:49
	s_waitcnt lgkmcnt(0)
	v_mul_f32_e32 v8, v5, v190
	v_mul_f32_e32 v14, v4, v190
	v_mul_f32_e32 v190, v6, v226
	s_delay_alu instid0(VALU_DEP_3) | instskip(SKIP_1) | instid1(VALU_DEP_4)
	v_fma_f32 v13, v4, v189, -v8
	v_mul_f32_e32 v4, v7, v226
	v_fmac_f32_e32 v14, v5, v189
	s_delay_alu instid0(VALU_DEP_4) | instskip(NEXT) | instid1(VALU_DEP_3)
	v_fmac_f32_e32 v190, v7, v225
	v_fma_f32 v189, v6, v225, -v4
	ds_load_2addr_b64 v[4:7], v255 offset0:68 offset1:85
	s_waitcnt lgkmcnt(0)
	v_mul_f32_e32 v8, v7, v232
	v_mul_f32_e32 v226, v6, v232
	v_mul_f32_e32 v232, v4, v186
	s_delay_alu instid0(VALU_DEP_3) | instskip(SKIP_1) | instid1(VALU_DEP_4)
	v_fma_f32 v225, v6, v231, -v8
	v_mul_f32_e32 v6, v5, v186
	v_fmac_f32_e32 v226, v7, v231
	s_delay_alu instid0(VALU_DEP_4) | instskip(NEXT) | instid1(VALU_DEP_3)
	v_fmac_f32_e32 v232, v5, v185
	v_fma_f32 v231, v4, v185, -v6
	;; [unrolled: 12-line block ×5, first 2 shown]
	ds_load_2addr_b64 v[4:7], v2 offset0:152 offset1:169
	s_waitcnt lgkmcnt(0)
	v_mul_f32_e32 v8, v7, v248
	v_mul_f32_e32 v218, v6, v248
	s_waitcnt vmcnt(0)
	v_mul_f32_e32 v248, v4, v216
	s_delay_alu instid0(VALU_DEP_3) | instskip(SKIP_2) | instid1(VALU_DEP_4)
	v_fma_f32 v217, v6, v247, -v8
	v_mul_f32_e32 v6, v5, v216
	v_fmac_f32_e32 v218, v7, v247
	v_fmac_f32_e32 v248, v5, v215
	s_delay_alu instid0(VALU_DEP_3)
	v_fma_f32 v247, v4, v215, -v6
	ds_load_2addr_b64 v[4:7], v2 offset0:220 offset1:237
	ds_store_2addr_b64 v255, v[193:194], v[191:192] offset1:17
	ds_store_2addr_b64 v255, v[203:204], v[209:210] offset0:170 offset1:187
	ds_store_2addr_b64 v2, v[219:220], v[211:212] offset0:84 offset1:101
	;; [unrolled: 1-line block ×12, first 2 shown]
	s_waitcnt lgkmcnt(13)
	v_mul_f32_e32 v8, v5, v240
	v_mul_f32_e32 v216, v4, v240
	s_delay_alu instid0(VALU_DEP_2) | instskip(NEXT) | instid1(VALU_DEP_2)
	v_fma_f32 v215, v4, v239, -v8
	v_fmac_f32_e32 v216, v5, v239
	v_mul_f32_e32 v4, v7, v222
	v_mul_f32_e32 v5, v6, v222
	s_delay_alu instid0(VALU_DEP_2) | instskip(NEXT) | instid1(VALU_DEP_2)
	v_fma_f32 v4, v6, v221, -v4
	v_fmac_f32_e32 v5, v7, v221
	ds_load_b64 v[6:7], v255 offset:4624
	s_waitcnt lgkmcnt(0)
	v_mul_f32_e32 v8, v7, v228
	v_mul_f32_e32 v9, v6, v228
	s_delay_alu instid0(VALU_DEP_2) | instskip(NEXT) | instid1(VALU_DEP_2)
	v_fma_f32 v8, v6, v227, -v8
	v_fmac_f32_e32 v9, v7, v227
	ds_store_2addr_b64 v255, v[243:244], v[195:196] offset0:238 offset1:255
	ds_store_2addr_b64 v2, v[207:208], v[241:242] offset0:50 offset1:67
	ds_store_2addr_b64 v2, v[247:248], v[217:218] offset0:152 offset1:169
	ds_store_2addr_b64 v2, v[215:216], v[4:5] offset0:220 offset1:237
	ds_store_b64 v255, v[8:9] offset:4624
	s_waitcnt lgkmcnt(0)
	s_barrier
	buffer_gl0_inv
	ds_load_2addr_b64 v[4:7], v255 offset0:170 offset1:187
	ds_load_2addr_b64 v[206:209], v2 offset0:152 offset1:169
	;; [unrolled: 1-line block ×5, first 2 shown]
	s_waitcnt lgkmcnt(3)
	v_dual_add_f32 v215, v4, v208 :: v_dual_add_f32 v214, v5, v209
	v_dual_sub_f32 v211, v4, v208 :: v_dual_sub_f32 v208, v5, v209
	s_waitcnt lgkmcnt(2)
	v_dual_add_f32 v204, v6, v8 :: v_dual_add_f32 v203, v7, v9
	v_dual_sub_f32 v197, v6, v8 :: v_dual_sub_f32 v196, v7, v9
	ds_load_2addr_b64 v[4:7], v255 offset0:204 offset1:221
	s_waitcnt lgkmcnt(0)
	v_dual_add_f32 v195, v4, v10 :: v_dual_add_f32 v194, v5, v11
	v_dual_sub_f32 v193, v4, v10 :: v_dual_sub_f32 v192, v5, v11
	v_dual_add_f32 v189, v6, v216 :: v_dual_add_f32 v10, v7, v217
	v_dual_sub_f32 v9, v6, v216 :: v_dual_sub_f32 v8, v7, v217
	;; [unrolled: 2-line block ×3, first 2 shown]
	ds_load_2addr_b64 v[216:219], v2 offset0:84 offset1:101
	s_waitcnt lgkmcnt(0)
	v_dual_add_f32 v16, v222, v216 :: v_dual_add_f32 v17, v223, v217
	v_dual_sub_f32 v18, v216, v222 :: v_dual_sub_f32 v19, v217, v223
	ds_load_2addr_b64 v[220:223], v2 offset0:16 offset1:33
	s_waitcnt lgkmcnt(0)
	v_dual_add_f32 v20, v220, v218 :: v_dual_add_f32 v21, v221, v219
	v_dual_sub_f32 v22, v218, v220 :: v_dual_sub_f32 v23, v219, v221
	ds_load_2addr_b64 v[216:219], v2 offset0:118 offset1:135
	s_waitcnt lgkmcnt(0)
	v_add_f32_e32 v202, v222, v216
	v_dual_add_f32 v238, v223, v217 :: v_dual_sub_f32 v239, v216, v222
	v_sub_f32_e32 v240, v217, v223
	ds_load_2addr_b64 v[220:223], v2 offset0:50 offset1:67
	s_waitcnt lgkmcnt(0)
	v_dual_add_f32 v241, v220, v218 :: v_dual_add_f32 v242, v221, v219
	v_dual_sub_f32 v217, v218, v220 :: v_dual_sub_f32 v216, v219, v221
	v_add_f32_e32 v205, v222, v206
	v_dual_add_f32 v191, v223, v207 :: v_dual_sub_f32 v190, v206, v222
	v_sub_f32_e32 v11, v207, v223
	ds_load_2addr_b64 v[218:221], v184 offset0:126 offset1:143
	ds_load_2addr_b64 v[222:225], v255 offset0:68 offset1:85
	;; [unrolled: 1-line block ×4, first 2 shown]
	ds_load_2addr_b64 v[184:187], v255 offset1:17
	ds_load_2addr_b64 v[234:237], v255 offset0:136 offset1:153
	s_waitcnt lgkmcnt(4)
	v_add_f32_e32 v243, v225, v219
	s_waitcnt lgkmcnt(3)
	v_add_f32_e32 v245, v226, v220
	s_waitcnt lgkmcnt(2)
	v_dual_add_f32 v251, v229, v231 :: v_dual_add_f32 v200, v224, v218
	v_sub_f32_e32 v229, v229, v231
	v_add_f32_e32 v247, v227, v221
	v_add_f32_e32 v249, v228, v230
	s_waitcnt lgkmcnt(0)
	v_add_f32_e32 v253, v234, v232
	v_add_f32_e32 v12, v215, v200
	;; [unrolled: 1-line block ×3, first 2 shown]
	v_dual_sub_f32 v27, v234, v232 :: v_dual_sub_f32 v218, v224, v218
	v_sub_f32_e32 v219, v225, v219
	s_delay_alu instid0(VALU_DEP_4) | instskip(SKIP_3) | instid1(VALU_DEP_4)
	v_dual_add_f32 v201, v16, v12 :: v_dual_add_f32 v12, v214, v243
	v_dual_sub_f32 v224, v18, v211 :: v_dual_sub_f32 v225, v19, v208
	v_sub_f32_e32 v220, v226, v220
	v_sub_f32_e32 v228, v228, v230
	v_add_f32_e32 v244, v17, v12
	v_add_f32_e32 v12, v204, v245
	v_sub_f32_e32 v221, v227, v221
	s_delay_alu instid0(VALU_DEP_3) | instskip(NEXT) | instid1(VALU_DEP_3)
	v_add_f32_e32 v13, v185, v244
	v_add_f32_e32 v246, v20, v12
	;; [unrolled: 1-line block ×3, first 2 shown]
	s_delay_alu instid0(VALU_DEP_2) | instskip(NEXT) | instid1(VALU_DEP_2)
	v_add_f32_e32 v14, v186, v246
	v_add_f32_e32 v248, v21, v12
	;; [unrolled: 1-line block ×4, first 2 shown]
	s_delay_alu instid0(VALU_DEP_3) | instskip(NEXT) | instid1(VALU_DEP_2)
	v_add_f32_e32 v15, v187, v248
	v_dual_fmamk_f32 v201, v201, 0xbf955555, v12 :: v_dual_add_f32 v250, v202, v184
	v_add_f32_e32 v184, v194, v251
	s_delay_alu instid0(VALU_DEP_1) | instskip(SKIP_1) | instid1(VALU_DEP_1)
	v_add_f32_e32 v252, v238, v184
	v_add_f32_e32 v184, v189, v253
	v_add_f32_e32 v24, v241, v184
	ds_load_2addr_b64 v[184:187], v255 offset0:34 offset1:51
	s_waitcnt lgkmcnt(0)
	v_dual_add_f32 v198, v184, v250 :: v_dual_add_f32 v199, v185, v252
	ds_load_b64 v[184:185], v255 offset:4624
	s_waitcnt lgkmcnt(0)
	s_barrier
	buffer_gl0_inv
	scratch_load_b32 v28, off, off offset:460 ; 4-byte Folded Reload
	v_dual_add_f32 v213, v236, v184 :: v_dual_add_f32 v212, v237, v185
	v_sub_f32_e32 v210, v236, v184
	v_sub_f32_e32 v206, v237, v185
	s_delay_alu instid0(VALU_DEP_3) | instskip(NEXT) | instid1(VALU_DEP_1)
	v_add_f32_e32 v184, v7, v213
	v_add_f32_e32 v209, v205, v184
	;; [unrolled: 1-line block ×3, first 2 shown]
	s_delay_alu instid0(VALU_DEP_1) | instskip(SKIP_3) | instid1(VALU_DEP_4)
	v_dual_add_f32 v207, v191, v184 :: v_dual_add_f32 v184, v222, v209
	v_sub_f32_e32 v222, v200, v16
	v_sub_f32_e32 v16, v16, v215
	;; [unrolled: 1-line block ×3, first 2 shown]
	v_add_f32_e32 v185, v223, v207
	v_add_f32_e32 v223, v18, v211
	v_sub_f32_e32 v18, v218, v18
	v_sub_f32_e32 v211, v211, v218
	;; [unrolled: 1-line block ×4, first 2 shown]
	v_add_f32_e32 v223, v223, v218
	v_add_f32_e32 v218, v19, v208
	v_sub_f32_e32 v19, v219, v19
	v_sub_f32_e32 v208, v208, v219
	;; [unrolled: 1-line block ×3, first 2 shown]
	v_mul_f32_e32 v215, 0x3f4a47b2, v215
	v_dual_add_f32 v218, v218, v219 :: v_dual_mul_f32 v219, 0x3f4a47b2, v222
	v_mul_f32_e32 v222, 0x3d64c772, v16
	s_delay_alu instid0(VALU_DEP_2) | instskip(NEXT) | instid1(VALU_DEP_2)
	v_fmamk_f32 v16, v16, 0x3d64c772, v219
	v_fma_f32 v222, 0x3f3bfb3b, v200, -v222
	v_fma_f32 v200, 0xbf3bfb3b, v200, -v219
	v_mul_f32_e32 v219, 0x3d64c772, v17
	s_delay_alu instid0(VALU_DEP_4) | instskip(NEXT) | instid1(VALU_DEP_4)
	v_dual_fmamk_f32 v17, v17, 0x3d64c772, v215 :: v_dual_add_f32 v16, v16, v201
	v_add_f32_e32 v222, v222, v201
	s_delay_alu instid0(VALU_DEP_3) | instskip(SKIP_3) | instid1(VALU_DEP_2)
	v_fma_f32 v219, 0x3f3bfb3b, v214, -v219
	v_fma_f32 v214, 0xbf3bfb3b, v214, -v215
	v_mul_f32_e32 v215, 0x3f08b237, v224
	v_mul_f32_e32 v224, 0xbf5ff5aa, v211
	v_fma_f32 v211, 0xbf5ff5aa, v211, -v215
	v_fmamk_f32 v226, v18, 0xbeae86e6, v215
	s_delay_alu instid0(VALU_DEP_3)
	v_fma_f32 v18, 0x3eae86e6, v18, -v224
	v_mul_f32_e32 v215, 0x3f08b237, v225
	v_mul_f32_e32 v224, 0xbf5ff5aa, v208
	v_fmac_f32_e32 v211, 0xbee1c552, v223
	v_fmac_f32_e32 v226, 0xbee1c552, v223
	;; [unrolled: 1-line block ×3, first 2 shown]
	v_fmamk_f32 v225, v19, 0xbeae86e6, v215
	v_fma_f32 v19, 0x3eae86e6, v19, -v224
	v_add_f32_e32 v224, v200, v201
	v_fmamk_f32 v200, v244, 0xbf955555, v13
	v_fma_f32 v208, 0xbf5ff5aa, v208, -v215
	v_fmac_f32_e32 v225, 0xbee1c552, v218
	v_fmac_f32_e32 v19, 0xbee1c552, v218
	s_delay_alu instid0(VALU_DEP_4) | instskip(SKIP_3) | instid1(VALU_DEP_4)
	v_add_f32_e32 v17, v17, v200
	v_add_f32_e32 v227, v219, v200
	v_add_f32_e32 v230, v214, v200
	v_fmac_f32_e32 v208, 0xbee1c552, v218
	v_dual_add_f32 v200, v16, v225 :: v_dual_sub_f32 v201, v17, v226
	s_delay_alu instid0(VALU_DEP_3) | instskip(NEXT) | instid1(VALU_DEP_3)
	v_dual_add_f32 v214, v19, v224 :: v_dual_sub_f32 v215, v230, v18
	v_dual_sub_f32 v218, v222, v208 :: v_dual_add_f32 v219, v211, v227
	s_waitcnt vmcnt(0)
	ds_store_2addr_b64 v28, v[12:13], v[200:201] offset1:1
	ds_store_2addr_b64 v28, v[214:215], v[218:219] offset0:2 offset1:3
	v_dual_add_f32 v12, v208, v222 :: v_dual_sub_f32 v13, v227, v211
	v_dual_sub_f32 v200, v224, v19 :: v_dual_add_f32 v201, v18, v230
	v_sub_f32_e32 v214, v16, v225
	v_add_f32_e32 v215, v226, v17
	ds_store_2addr_b64 v28, v[12:13], v[200:201] offset0:4 offset1:5
	ds_store_b64 v28, v[214:215] offset:48
	v_sub_f32_e32 v12, v245, v20
	v_sub_f32_e32 v13, v20, v204
	v_sub_f32_e32 v16, v204, v245
	v_dual_sub_f32 v17, v247, v21 :: v_dual_sub_f32 v18, v21, v203
	s_delay_alu instid0(VALU_DEP_4) | instskip(NEXT) | instid1(VALU_DEP_4)
	v_dual_sub_f32 v19, v203, v247 :: v_dual_mul_f32 v12, 0x3f4a47b2, v12
	v_mul_f32_e32 v203, 0x3d64c772, v13
	v_add_f32_e32 v20, v22, v197
	v_sub_f32_e32 v21, v22, v197
	v_sub_f32_e32 v197, v197, v220
	v_fmamk_f32 v13, v13, 0x3d64c772, v12
	v_fma_f32 v203, 0x3f3bfb3b, v16, -v203
	v_fma_f32 v12, 0xbf3bfb3b, v16, -v12
	v_mul_f32_e32 v16, 0x3f4a47b2, v17
	v_mul_f32_e32 v17, 0x3d64c772, v18
	v_sub_f32_e32 v22, v220, v22
	v_add_f32_e32 v20, v20, v220
	s_delay_alu instid0(VALU_DEP_4) | instskip(NEXT) | instid1(VALU_DEP_4)
	v_dual_sub_f32 v201, v23, v196 :: v_dual_fmamk_f32 v18, v18, 0x3d64c772, v16
	v_fma_f32 v17, 0x3f3bfb3b, v19, -v17
	v_fma_f32 v16, 0xbf3bfb3b, v19, -v16
	v_mul_f32_e32 v19, 0x3f08b237, v21
	v_dual_mul_f32 v21, 0xbf5ff5aa, v197 :: v_dual_add_f32 v200, v23, v196
	v_dual_sub_f32 v196, v196, v221 :: v_dual_sub_f32 v23, v221, v23
	s_delay_alu instid0(VALU_DEP_3) | instskip(SKIP_1) | instid1(VALU_DEP_4)
	v_fma_f32 v204, 0xbf5ff5aa, v197, -v19
	v_fmamk_f32 v19, v22, 0xbeae86e6, v19
	v_fma_f32 v21, 0x3eae86e6, v22, -v21
	v_mul_f32_e32 v22, 0x3f08b237, v201
	v_mul_f32_e32 v197, 0xbf5ff5aa, v196
	v_fmac_f32_e32 v204, 0xbee1c552, v20
	v_fmac_f32_e32 v19, 0xbee1c552, v20
	;; [unrolled: 1-line block ×3, first 2 shown]
	scratch_load_b32 v20, off, off offset:456 ; 4-byte Folded Reload
	v_fma_f32 v208, 0xbf5ff5aa, v196, -v22
	v_fmamk_f32 v196, v246, 0xbf955555, v14
	v_add_f32_e32 v200, v200, v221
	v_fmamk_f32 v22, v23, 0xbeae86e6, v22
	v_fma_f32 v23, 0x3eae86e6, v23, -v197
	s_delay_alu instid0(VALU_DEP_4) | instskip(SKIP_1) | instid1(VALU_DEP_4)
	v_add_f32_e32 v214, v12, v196
	v_dual_fmamk_f32 v12, v248, 0xbf955555, v15 :: v_dual_add_f32 v211, v13, v196
	v_fmac_f32_e32 v22, 0xbee1c552, v200
	v_add_f32_e32 v203, v203, v196
	v_fmac_f32_e32 v208, 0xbee1c552, v200
	s_delay_alu instid0(VALU_DEP_4) | instskip(SKIP_3) | instid1(VALU_DEP_4)
	v_add_f32_e32 v18, v18, v12
	v_add_f32_e32 v17, v17, v12
	;; [unrolled: 1-line block ×3, first 2 shown]
	v_dual_fmac_f32 v23, 0xbee1c552, v200 :: v_dual_add_f32 v12, v211, v22
	v_dual_sub_f32 v13, v18, v19 :: v_dual_sub_f32 v200, v203, v208
	s_delay_alu instid0(VALU_DEP_2)
	v_dual_sub_f32 v197, v16, v21 :: v_dual_add_f32 v196, v23, v214
	v_add_f32_e32 v201, v204, v17
	s_waitcnt vmcnt(0)
	ds_store_2addr_b64 v20, v[14:15], v[12:13] offset1:1
	ds_store_2addr_b64 v20, v[196:197], v[200:201] offset0:2 offset1:3
	v_dual_add_f32 v12, v208, v203 :: v_dual_sub_f32 v13, v17, v204
	v_dual_sub_f32 v14, v214, v23 :: v_dual_add_f32 v15, v21, v16
	v_sub_f32_e32 v196, v211, v22
	v_add_f32_e32 v197, v19, v18
	ds_store_2addr_b64 v20, v[12:13], v[14:15] offset0:4 offset1:5
	ds_store_b64 v20, v[196:197] offset:48
	v_dual_sub_f32 v12, v249, v202 :: v_dual_sub_f32 v13, v202, v195
	v_sub_f32_e32 v14, v195, v249
	v_sub_f32_e32 v15, v251, v238
	;; [unrolled: 1-line block ×3, first 2 shown]
	s_delay_alu instid0(VALU_DEP_4) | instskip(SKIP_3) | instid1(VALU_DEP_4)
	v_dual_sub_f32 v17, v194, v251 :: v_dual_mul_f32 v12, 0x3f4a47b2, v12
	v_mul_f32_e32 v194, 0x3d64c772, v13
	v_sub_f32_e32 v19, v239, v193
	v_dual_sub_f32 v21, v193, v228 :: v_dual_add_f32 v18, v239, v193
	v_fmamk_f32 v13, v13, 0x3d64c772, v12
	s_delay_alu instid0(VALU_DEP_4)
	v_fma_f32 v194, 0x3f3bfb3b, v14, -v194
	v_fma_f32 v12, 0xbf3bfb3b, v14, -v12
	v_mul_f32_e32 v14, 0x3f4a47b2, v15
	v_dual_mul_f32 v15, 0x3d64c772, v16 :: v_dual_sub_f32 v20, v228, v239
	v_add_f32_e32 v18, v18, v228
	v_sub_f32_e32 v23, v240, v192
	s_delay_alu instid0(VALU_DEP_4) | instskip(NEXT) | instid1(VALU_DEP_4)
	v_fmamk_f32 v16, v16, 0x3d64c772, v14
	v_fma_f32 v15, 0x3f3bfb3b, v17, -v15
	v_fma_f32 v14, 0xbf3bfb3b, v17, -v14
	v_mul_f32_e32 v17, 0x3f08b237, v19
	v_dual_mul_f32 v19, 0xbf5ff5aa, v21 :: v_dual_add_f32 v22, v240, v192
	v_dual_sub_f32 v192, v192, v229 :: v_dual_sub_f32 v193, v229, v240
	s_delay_alu instid0(VALU_DEP_3) | instskip(SKIP_1) | instid1(VALU_DEP_4)
	v_fma_f32 v21, 0xbf5ff5aa, v21, -v17
	v_fmamk_f32 v17, v20, 0xbeae86e6, v17
	v_fma_f32 v19, 0x3eae86e6, v20, -v19
	v_mul_f32_e32 v20, 0x3f08b237, v23
	v_mul_f32_e32 v23, 0xbf5ff5aa, v192
	v_fmac_f32_e32 v21, 0xbee1c552, v18
	v_fmac_f32_e32 v17, 0xbee1c552, v18
	;; [unrolled: 1-line block ×3, first 2 shown]
	scratch_load_b32 v18, off, off offset:452 ; 4-byte Folded Reload
	v_fma_f32 v195, 0xbf5ff5aa, v192, -v20
	v_fmamk_f32 v192, v250, 0xbf955555, v198
	v_add_f32_e32 v22, v22, v229
	v_fmamk_f32 v20, v193, 0xbeae86e6, v20
	v_fma_f32 v23, 0x3eae86e6, v193, -v23
	s_delay_alu instid0(VALU_DEP_4) | instskip(SKIP_4) | instid1(VALU_DEP_4)
	v_add_f32_e32 v197, v12, v192
	v_fmamk_f32 v12, v252, 0xbf955555, v199
	v_add_f32_e32 v196, v13, v192
	v_fmac_f32_e32 v20, 0xbee1c552, v22
	v_dual_add_f32 v194, v194, v192 :: v_dual_fmac_f32 v195, 0xbee1c552, v22
	v_add_f32_e32 v16, v16, v12
	v_add_f32_e32 v200, v15, v12
	v_add_f32_e32 v201, v14, v12
	v_dual_add_f32 v26, v10, v25 :: v_dual_fmac_f32 v23, 0xbee1c552, v22
	v_add_f32_e32 v12, v196, v20
	v_sub_f32_e32 v13, v16, v17
	s_delay_alu instid0(VALU_DEP_3) | instskip(NEXT) | instid1(VALU_DEP_4)
	v_dual_sub_f32 v15, v201, v19 :: v_dual_add_f32 v26, v242, v26
	v_dual_add_f32 v193, v21, v200 :: v_dual_add_f32 v14, v23, v197
	v_sub_f32_e32 v192, v194, v195
	v_sub_f32_e32 v232, v235, v233
	s_delay_alu instid0(VALU_DEP_4)
	v_add_f32_e32 v187, v187, v26
	s_waitcnt vmcnt(0)
	ds_store_2addr_b64 v18, v[198:199], v[12:13] offset1:1
	ds_store_2addr_b64 v18, v[14:15], v[192:193] offset0:2 offset1:3
	v_dual_add_f32 v193, v17, v16 :: v_dual_add_f32 v12, v195, v194
	v_dual_sub_f32 v13, v200, v21 :: v_dual_sub_f32 v14, v197, v23
	v_dual_add_f32 v15, v19, v201 :: v_dual_sub_f32 v192, v196, v20
	v_add_f32_e32 v186, v186, v24
	ds_store_2addr_b64 v18, v[12:13], v[14:15] offset0:4 offset1:5
	ds_store_b64 v18, v[192:193] offset:48
	v_sub_f32_e32 v13, v241, v189
	v_sub_f32_e32 v12, v253, v241
	;; [unrolled: 1-line block ×4, first 2 shown]
	s_delay_alu instid0(VALU_DEP_4) | instskip(NEXT) | instid1(VALU_DEP_4)
	v_dual_sub_f32 v16, v242, v10 :: v_dual_mul_f32 v23, 0x3d64c772, v13
	v_mul_f32_e32 v12, 0x3f4a47b2, v12
	v_sub_f32_e32 v10, v10, v25
	v_add_f32_e32 v17, v217, v9
	v_sub_f32_e32 v18, v217, v9
	v_sub_f32_e32 v9, v9, v27
	v_fmamk_f32 v13, v13, 0x3d64c772, v12
	v_fma_f32 v23, 0x3f3bfb3b, v14, -v23
	v_fma_f32 v12, 0xbf3bfb3b, v14, -v12
	v_mul_f32_e32 v14, 0x3f4a47b2, v15
	v_mul_f32_e32 v15, 0x3d64c772, v16
	v_sub_f32_e32 v19, v27, v217
	v_add_f32_e32 v17, v17, v27
	v_sub_f32_e32 v21, v216, v8
	v_fmamk_f32 v16, v16, 0x3d64c772, v14
	v_fma_f32 v15, 0x3f3bfb3b, v10, -v15
	v_fma_f32 v10, 0xbf3bfb3b, v10, -v14
	v_mul_f32_e32 v14, 0x3f08b237, v18
	v_mul_f32_e32 v18, 0xbf5ff5aa, v9
	v_add_f32_e32 v20, v216, v8
	v_sub_f32_e32 v8, v8, v232
	v_sub_f32_e32 v22, v232, v216
	v_fma_f32 v25, 0xbf5ff5aa, v9, -v14
	v_fmamk_f32 v27, v19, 0xbeae86e6, v14
	v_fma_f32 v18, 0x3eae86e6, v19, -v18
	v_mul_f32_e32 v9, 0x3f08b237, v21
	v_mul_f32_e32 v14, 0xbf5ff5aa, v8
	v_fmac_f32_e32 v25, 0xbee1c552, v17
	v_fmac_f32_e32 v27, 0xbee1c552, v17
	v_fmac_f32_e32 v18, 0xbee1c552, v17
	scratch_load_b32 v17, off, off offset:432 ; 4-byte Folded Reload
	v_fma_f32 v19, 0xbf5ff5aa, v8, -v9
	v_fmamk_f32 v8, v24, 0xbf955555, v186
	v_dual_add_f32 v20, v20, v232 :: v_dual_fmamk_f32 v21, v22, 0xbeae86e6, v9
	v_fma_f32 v22, 0x3eae86e6, v22, -v14
	s_delay_alu instid0(VALU_DEP_3)
	v_add_f32_e32 v24, v13, v8
	v_add_f32_e32 v23, v23, v8
	v_dual_add_f32 v189, v12, v8 :: v_dual_fmamk_f32 v8, v26, 0xbf955555, v187
	v_fmac_f32_e32 v21, 0xbee1c552, v20
	v_fmac_f32_e32 v19, 0xbee1c552, v20
	;; [unrolled: 1-line block ×3, first 2 shown]
	s_delay_alu instid0(VALU_DEP_4) | instskip(SKIP_3) | instid1(VALU_DEP_4)
	v_add_f32_e32 v16, v16, v8
	v_add_f32_e32 v26, v15, v8
	;; [unrolled: 1-line block ×4, first 2 shown]
	v_dual_add_f32 v12, v22, v189 :: v_dual_sub_f32 v9, v16, v27
	s_delay_alu instid0(VALU_DEP_3)
	v_dual_sub_f32 v14, v23, v19 :: v_dual_sub_f32 v13, v10, v18
	v_add_f32_e32 v15, v25, v26
	s_waitcnt vmcnt(0)
	ds_store_2addr_b64 v17, v[186:187], v[8:9] offset1:1
	ds_store_2addr_b64 v17, v[12:13], v[14:15] offset0:2 offset1:3
	v_dual_add_f32 v8, v19, v23 :: v_dual_sub_f32 v9, v26, v25
	v_sub_f32_e32 v12, v189, v22
	v_dual_add_f32 v13, v18, v10 :: v_dual_sub_f32 v14, v24, v21
	v_add_f32_e32 v15, v27, v16
	ds_store_2addr_b64 v17, v[8:9], v[12:13] offset0:4 offset1:5
	ds_store_b64 v17, v[14:15] offset:48
	v_sub_f32_e32 v8, v213, v205
	v_sub_f32_e32 v9, v205, v7
	v_dual_sub_f32 v7, v7, v213 :: v_dual_sub_f32 v10, v212, v191
	v_sub_f32_e32 v12, v191, v6
	s_delay_alu instid0(VALU_DEP_4) | instskip(NEXT) | instid1(VALU_DEP_4)
	v_mul_f32_e32 v8, 0x3f4a47b2, v8
	v_mul_f32_e32 v18, 0x3d64c772, v9
	v_sub_f32_e32 v6, v6, v212
	v_add_f32_e32 v13, v190, v5
	v_dual_sub_f32 v14, v190, v5 :: v_dual_sub_f32 v5, v5, v210
	v_fmamk_f32 v9, v9, 0x3d64c772, v8
	v_fma_f32 v18, 0x3f3bfb3b, v7, -v18
	v_fma_f32 v7, 0xbf3bfb3b, v7, -v8
	v_mul_f32_e32 v8, 0x3f4a47b2, v10
	v_dual_mul_f32 v10, 0x3d64c772, v12 :: v_dual_sub_f32 v15, v210, v190
	v_add_f32_e32 v13, v13, v210
	s_delay_alu instid0(VALU_DEP_3) | instskip(NEXT) | instid1(VALU_DEP_3)
	v_dual_sub_f32 v17, v11, v4 :: v_dual_fmamk_f32 v12, v12, 0x3d64c772, v8
	v_fma_f32 v10, 0x3f3bfb3b, v6, -v10
	v_fma_f32 v6, 0xbf3bfb3b, v6, -v8
	v_mul_f32_e32 v8, 0x3f08b237, v14
	v_mul_f32_e32 v14, 0xbf5ff5aa, v5
	v_add_f32_e32 v16, v11, v4
	v_dual_sub_f32 v4, v4, v206 :: v_dual_sub_f32 v11, v206, v11
	s_delay_alu instid0(VALU_DEP_4)
	v_fma_f32 v19, 0xbf5ff5aa, v5, -v8
	v_fmamk_f32 v20, v15, 0xbeae86e6, v8
	v_fma_f32 v14, 0x3eae86e6, v15, -v14
	v_mul_f32_e32 v5, 0x3f08b237, v17
	v_mul_f32_e32 v8, 0xbf5ff5aa, v4
	v_fmac_f32_e32 v19, 0xbee1c552, v13
	v_fmac_f32_e32 v20, 0xbee1c552, v13
	;; [unrolled: 1-line block ×3, first 2 shown]
	scratch_load_b32 v13, off, off offset:428 ; 4-byte Folded Reload
	v_fma_f32 v15, 0xbf5ff5aa, v4, -v5
	v_fmamk_f32 v4, v209, 0xbf955555, v184
	v_dual_add_f32 v16, v16, v206 :: v_dual_fmamk_f32 v17, v11, 0xbeae86e6, v5
	v_fma_f32 v11, 0x3eae86e6, v11, -v8
	s_delay_alu instid0(VALU_DEP_3)
	v_add_f32_e32 v21, v9, v4
	v_add_f32_e32 v18, v18, v4
	;; [unrolled: 1-line block ×3, first 2 shown]
	v_fmamk_f32 v4, v207, 0xbf955555, v185
	v_fmac_f32_e32 v17, 0xbee1c552, v16
	v_fmac_f32_e32 v15, 0xbee1c552, v16
	;; [unrolled: 1-line block ×3, first 2 shown]
	s_delay_alu instid0(VALU_DEP_4) | instskip(SKIP_2) | instid1(VALU_DEP_3)
	v_add_f32_e32 v12, v12, v4
	v_add_f32_e32 v10, v10, v4
	v_dual_add_f32 v23, v6, v4 :: v_dual_add_f32 v4, v21, v17
	v_dual_add_f32 v6, v11, v22 :: v_dual_sub_f32 v5, v12, v20
	s_delay_alu instid0(VALU_DEP_2) | instskip(NEXT) | instid1(VALU_DEP_4)
	v_dual_sub_f32 v8, v18, v15 :: v_dual_sub_f32 v7, v23, v14
	v_add_f32_e32 v9, v19, v10
	s_waitcnt vmcnt(0)
	ds_store_2addr_b64 v13, v[184:185], v[4:5] offset1:1
	ds_store_2addr_b64 v13, v[6:7], v[8:9] offset0:2 offset1:3
	v_dual_add_f32 v4, v15, v18 :: v_dual_sub_f32 v5, v10, v19
	v_sub_f32_e32 v6, v22, v11
	v_dual_add_f32 v7, v14, v23 :: v_dual_sub_f32 v252, v21, v17
	v_add_f32_e32 v253, v20, v12
	ds_store_2addr_b64 v13, v[4:5], v[6:7] offset0:4 offset1:5
	ds_store_b64 v13, v[252:253] offset:48
	s_waitcnt lgkmcnt(0)
	s_barrier
	buffer_gl0_inv
	ds_load_2addr_b64 v[224:227], v188 offset0:117 offset1:134
	ds_load_2addr_b64 v[220:223], v2 offset0:24 offset1:41
	;; [unrolled: 1-line block ×10, first 2 shown]
	ds_load_2addr_b64 v[184:187], v255 offset1:17
	ds_load_2addr_b64 v[248:251], v255 offset0:35 offset1:52
	ds_load_2addr_b64 v[244:247], v255 offset0:70 offset1:87
	;; [unrolled: 1-line block ×6, first 2 shown]
	s_and_saveexec_b32 s0, vcc_lo
	s_cbranch_execz .LBB0_7
; %bb.6:
	scratch_load_b32 v4, off, off offset:296 ; 4-byte Folded Reload
	ds_load_b64 v[252:253], v255 offset:272
	s_waitcnt vmcnt(0)
	v_add_nc_u32_e32 v2, 0x800, v4
	v_add_nc_u32_e32 v3, 0xc00, v4
	ds_load_2addr_b64 v[32:35], v4 offset0:69 offset1:104
	ds_load_2addr_b64 v[40:43], v4 offset0:139 offset1:174
	ds_load_2addr_b64 v[48:51], v4 offset0:209 offset1:244
	v_add_nc_u32_e32 v4, 0x1000, v4
	ds_load_2addr_b64 v[56:59], v2 offset0:23 offset1:58
	ds_load_2addr_b64 v[124:127], v2 offset0:93 offset1:128
	;; [unrolled: 1-line block ×5, first 2 shown]
.LBB0_7:
	s_or_b32 exec_lo, exec_lo, s0
	scratch_load_b128 v[9:12], off, off offset:436 ; 16-byte Folded Reload
	s_waitcnt lgkmcnt(8)
	v_mul_f32_e32 v5, v89, v193
	s_waitcnt vmcnt(0) lgkmcnt(4)
	v_dual_mul_f32 v8, v10, v249 :: v_dual_mul_f32 v3, v12, v244
	v_mul_f32_e32 v4, v12, v245
	scratch_load_b128 v[12:15], off, off offset:412 ; 16-byte Folded Reload
	v_mul_f32_e32 v2, v10, v248
	v_fmac_f32_e32 v8, v9, v248
	v_fma_f32 v6, v11, v245, -v3
	s_waitcnt lgkmcnt(2)
	v_dual_mul_f32 v3, v123, v236 :: v_dual_mul_f32 v248, v121, v241
	v_fma_f32 v9, v9, v249, -v2
	v_mul_f32_e32 v2, v121, v240
	v_fmac_f32_e32 v4, v11, v244
	v_dual_mul_f32 v244, v123, v237 :: v_dual_fmac_f32 v5, v88, v192
	v_mul_f32_e32 v10, v91, v189
	s_delay_alu instid0(VALU_DEP_4)
	v_fma_f32 v245, v120, v241, -v2
	s_waitcnt lgkmcnt(1)
	v_mul_f32_e32 v2, v109, v232
	v_fma_f32 v241, v122, v237, -v3
	s_waitcnt lgkmcnt(0)
	v_mul_f32_e32 v3, v111, v228
	v_fmac_f32_e32 v248, v120, v240
	v_mul_f32_e32 v240, v109, v233
	v_fma_f32 v237, v108, v233, -v2
	v_mul_f32_e32 v2, v113, v224
	v_fma_f32 v233, v110, v229, -v3
	v_mul_f32_e32 v3, v105, v216
	v_fmac_f32_e32 v244, v122, v236
	v_mul_f32_e32 v236, v111, v229
	v_mul_f32_e32 v229, v107, v213
	s_delay_alu instid0(VALU_DEP_1) | instskip(SKIP_4) | instid1(VALU_DEP_3)
	v_fmac_f32_e32 v229, v106, v212
	v_fmac_f32_e32 v240, v108, v232
	v_mul_f32_e32 v232, v113, v225
	v_fma_f32 v225, v112, v225, -v2
	v_mul_f32_e32 v2, v115, v220
	v_fmac_f32_e32 v232, v112, v224
	v_mul_f32_e32 v224, v105, v217
	s_delay_alu instid0(VALU_DEP_1) | instskip(SKIP_4) | instid1(VALU_DEP_1)
	v_fmac_f32_e32 v224, v104, v216
	v_fma_f32 v216, v104, v217, -v3
	v_mul_f32_e32 v3, v101, v208
	v_fmac_f32_e32 v236, v110, v228
	v_mul_f32_e32 v228, v115, v221
	v_dual_mul_f32 v217, v101, v209 :: v_dual_fmac_f32 v228, v114, v220
	v_fma_f32 v220, v114, v221, -v2
	v_mul_f32_e32 v2, v107, v212
	s_delay_alu instid0(VALU_DEP_3)
	v_fmac_f32_e32 v217, v100, v208
	v_fma_f32 v208, v100, v209, -v3
	v_mul_f32_e32 v209, v93, v201
	v_mul_f32_e32 v3, v95, v196
	v_fma_f32 v212, v106, v213, -v2
	v_mul_f32_e32 v213, v103, v205
	v_mul_f32_e32 v2, v103, v204
	v_fmac_f32_e32 v209, v92, v200
	s_delay_alu instid0(VALU_DEP_3) | instskip(NEXT) | instid1(VALU_DEP_3)
	v_fmac_f32_e32 v213, v102, v204
	v_fma_f32 v204, v102, v205, -v2
	v_dual_mul_f32 v2, v93, v200 :: v_dual_mul_f32 v205, v95, v197
	s_delay_alu instid0(VALU_DEP_1) | instskip(SKIP_1) | instid1(VALU_DEP_3)
	v_fma_f32 v200, v92, v201, -v2
	v_mul_f32_e32 v2, v89, v192
	v_fmac_f32_e32 v205, v94, v196
	s_delay_alu instid0(VALU_DEP_2)
	v_fma_f32 v7, v88, v193, -v2
	s_waitcnt vmcnt(0)
	v_mul_f32_e32 v2, v13, v250
	v_fma_f32 v93, v94, v197, -v3
	v_mul_f32_e32 v114, v15, v247
	v_mul_f32_e32 v3, v91, v188
	;; [unrolled: 1-line block ×3, first 2 shown]
	v_fma_f32 v94, v12, v251, -v2
	v_mul_f32_e32 v2, v15, v246
	scratch_load_b128 v[15:18], off, off offset:396 ; 16-byte Folded Reload
	v_fmac_f32_e32 v114, v14, v246
	v_fma_f32 v11, v90, v189, -v3
	v_fmac_f32_e32 v95, v12, v250
	v_fma_f32 v117, v14, v247, -v2
	v_add_f32_e32 v77, v4, v5
	s_waitcnt vmcnt(0)
	v_mul_f32_e32 v109, v16, v243
	v_dual_mul_f32 v3, v16, v242 :: v_dual_mul_f32 v104, v18, v239
	s_delay_alu instid0(VALU_DEP_2) | instskip(NEXT) | instid1(VALU_DEP_2)
	v_fmac_f32_e32 v109, v15, v242
	v_fma_f32 v111, v15, v243, -v3
	scratch_load_b128 v[13:16], off, off offset:380 ; 16-byte Folded Reload
	v_fmac_f32_e32 v104, v17, v238
	s_waitcnt vmcnt(0)
	v_mul_f32_e32 v102, v14, v235
	v_mul_f32_e32 v3, v14, v234
	s_delay_alu instid0(VALU_DEP_2) | instskip(NEXT) | instid1(VALU_DEP_2)
	v_fmac_f32_e32 v102, v13, v234
	v_fma_f32 v106, v13, v235, -v3
	v_add_f32_e32 v13, v185, v9
	s_delay_alu instid0(VALU_DEP_1) | instskip(NEXT) | instid1(VALU_DEP_1)
	v_dual_add_f32 v13, v13, v6 :: v_dual_fmac_f32 v10, v90, v188
	v_add_f32_e32 v13, v13, v245
	s_delay_alu instid0(VALU_DEP_1) | instskip(NEXT) | instid1(VALU_DEP_1)
	v_dual_add_f32 v13, v13, v241 :: v_dual_mul_f32 v2, v18, v238
	v_add_f32_e32 v13, v13, v237
	s_delay_alu instid0(VALU_DEP_2) | instskip(NEXT) | instid1(VALU_DEP_2)
	v_fma_f32 v107, v17, v239, -v2
	v_dual_mul_f32 v98, v16, v231 :: v_dual_add_f32 v13, v13, v233
	v_mul_f32_e32 v12, v16, v230
	scratch_load_b128 v[16:19], off, off offset:364 ; 16-byte Folded Reload
	v_dual_add_f32 v13, v13, v225 :: v_dual_fmac_f32 v98, v15, v230
	v_fma_f32 v100, v15, v231, -v12
	s_delay_alu instid0(VALU_DEP_2) | instskip(NEXT) | instid1(VALU_DEP_1)
	v_add_f32_e32 v13, v13, v220
	v_add_f32_e32 v13, v13, v216
	s_delay_alu instid0(VALU_DEP_1) | instskip(NEXT) | instid1(VALU_DEP_1)
	v_add_f32_e32 v13, v13, v212
	v_add_f32_e32 v13, v13, v208
	s_delay_alu instid0(VALU_DEP_1) | instskip(NEXT) | instid1(VALU_DEP_1)
	;; [unrolled: 3-line block ×3, first 2 shown]
	v_add_f32_e32 v13, v13, v93
	v_add_f32_e32 v13, v13, v7
	s_delay_alu instid0(VALU_DEP_1)
	v_add_f32_e32 v69, v13, v11
	s_waitcnt vmcnt(0)
	v_mul_f32_e32 v2, v17, v227
	v_dual_mul_f32 v14, v17, v226 :: v_dual_mul_f32 v3, v19, v223
	v_mul_f32_e32 v15, v19, v222
	v_add_f32_e32 v189, v228, v224
	s_delay_alu instid0(VALU_DEP_4) | instskip(NEXT) | instid1(VALU_DEP_4)
	v_fmac_f32_e32 v2, v16, v226
	v_fma_f32 v101, v16, v227, -v14
	v_fmac_f32_e32 v3, v18, v222
	v_fma_f32 v96, v18, v223, -v15
	scratch_load_b128 v[15:18], off, off offset:348 ; 16-byte Folded Reload
	s_waitcnt vmcnt(0)
	v_dual_mul_f32 v14, v16, v218 :: v_dual_mul_f32 v103, v18, v215
	v_mul_f32_e32 v97, v16, v219
	s_delay_alu instid0(VALU_DEP_2)
	v_fma_f32 v99, v15, v219, -v14
	v_mul_f32_e32 v14, v18, v214
	scratch_load_b128 v[18:21], off, off offset:332 ; 16-byte Folded Reload
	v_fmac_f32_e32 v97, v15, v218
	v_fmac_f32_e32 v103, v17, v214
	v_fma_f32 v105, v17, v215, -v14
	s_waitcnt vmcnt(0)
	v_mul_f32_e32 v108, v19, v211
	v_mul_f32_e32 v15, v19, v210
	;; [unrolled: 1-line block ×3, first 2 shown]
	s_delay_alu instid0(VALU_DEP_3) | instskip(NEXT) | instid1(VALU_DEP_3)
	v_fmac_f32_e32 v108, v18, v210
	v_fma_f32 v110, v18, v211, -v15
	scratch_load_b128 v[16:19], off, off offset:316 ; 16-byte Folded Reload
	v_add_f32_e32 v12, v184, v8
	v_fma_f32 v113, v20, v207, -v14
	s_waitcnt vmcnt(0)
	v_mul_f32_e32 v115, v17, v203
	v_mul_f32_e32 v14, v17, v202
	v_dual_add_f32 v12, v12, v4 :: v_dual_mul_f32 v15, v19, v198
	s_delay_alu instid0(VALU_DEP_3) | instskip(NEXT) | instid1(VALU_DEP_3)
	v_dual_mul_f32 v118, v19, v199 :: v_dual_fmac_f32 v115, v16, v202
	v_fma_f32 v116, v16, v203, -v14
	v_add_f32_e32 v16, v8, v10
	v_sub_f32_e32 v8, v8, v10
	v_mul_f32_e32 v112, v21, v207
	v_fmac_f32_e32 v118, v18, v198
	v_fma_f32 v119, v18, v199, -v15
	s_delay_alu instid0(VALU_DEP_3)
	v_fmac_f32_e32 v112, v20, v206
	scratch_load_b128 v[18:21], off, off offset:300 ; 16-byte Folded Reload
	v_add_f32_e32 v12, v12, v248
	s_waitcnt vmcnt(0)
	s_barrier
	buffer_gl0_inv
	v_mul_f32_e32 v15, v21, v190
	v_mul_f32_e32 v14, v19, v194
	v_add_f32_e32 v12, v12, v244
	v_mul_f32_e32 v120, v19, v195
	s_delay_alu instid0(VALU_DEP_4) | instskip(NEXT) | instid1(VALU_DEP_4)
	v_fma_f32 v123, v20, v191, -v15
	v_fma_f32 v121, v18, v195, -v14
	v_sub_f32_e32 v14, v9, v11
	v_mul_f32_e32 v122, v21, v191
	v_add_f32_e32 v9, v9, v11
	s_delay_alu instid0(VALU_DEP_4) | instskip(NEXT) | instid1(VALU_DEP_4)
	v_sub_f32_e32 v193, v117, v121
	v_mul_f32_e32 v23, 0xbf7ee86f, v14
	s_delay_alu instid0(VALU_DEP_3) | instskip(SKIP_2) | instid1(VALU_DEP_4)
	v_dual_fmac_f32 v122, v20, v190 :: v_dual_mul_f32 v61, 0xbe8c1d8e, v9
	v_mul_f32_e32 v19, 0x3f6eb680, v9
	v_mul_f32_e32 v15, 0x3f3d2fb0, v9
	v_fmamk_f32 v25, v16, 0x3dbcf732, v23
	v_dual_add_f32 v12, v12, v240 :: v_dual_mul_f32 v17, 0xbeb8f4ab, v14
	s_delay_alu instid0(VALU_DEP_4) | instskip(SKIP_2) | instid1(VALU_DEP_4)
	v_fmamk_f32 v11, v8, 0x3eb8f4ab, v19
	v_mul_f32_e32 v26, 0x3dbcf732, v9
	v_fmamk_f32 v63, v8, 0x3f763a35, v61
	v_add_f32_e32 v12, v12, v236
	v_fmac_f32_e32 v61, 0xbf763a35, v8
	v_add_f32_e32 v11, v185, v11
	v_fmamk_f32 v27, v8, 0x3f7ee86f, v26
	v_mul_f32_e32 v66, 0xbf1a4643, v9
	s_delay_alu instid0(VALU_DEP_4) | instskip(SKIP_1) | instid1(VALU_DEP_3)
	v_dual_add_f32 v12, v12, v232 :: v_dual_add_f32 v61, v185, v61
	v_mul_f32_e32 v67, 0xbf06c442, v14
	v_dual_add_f32 v27, v185, v27 :: v_dual_fmamk_f32 v70, v8, 0x3f4c4adb, v66
	s_delay_alu instid0(VALU_DEP_3) | instskip(SKIP_2) | instid1(VALU_DEP_4)
	v_add_f32_e32 v12, v12, v228
	v_mul_f32_e32 v72, 0xbf59a7d5, v9
	v_fmac_f32_e32 v19, 0xbeb8f4ab, v8
	v_dual_add_f32 v25, v184, v25 :: v_dual_add_f32 v70, v185, v70
	s_delay_alu instid0(VALU_DEP_4) | instskip(SKIP_3) | instid1(VALU_DEP_4)
	v_dual_add_f32 v12, v12, v224 :: v_dual_add_f32 v63, v185, v63
	v_fmamk_f32 v71, v16, 0xbf59a7d5, v67
	v_mul_f32_e32 v22, 0x3ee437d1, v9
	v_mul_f32_e32 v9, 0xbf7ba420, v9
	v_add_f32_e32 v12, v12, v229
	v_fma_f32 v23, 0x3dbcf732, v16, -v23
	v_dual_mul_f32 v20, 0xbf65296c, v14 :: v_dual_add_f32 v71, v184, v71
	s_delay_alu instid0(VALU_DEP_4) | instskip(NEXT) | instid1(VALU_DEP_4)
	v_fmamk_f32 v75, v8, 0x3e3c28d5, v9
	v_add_f32_e32 v12, v12, v217
	v_dual_sub_f32 v76, v6, v7 :: v_dual_fmac_f32 v9, 0xbe3c28d5, v8
	v_fmamk_f32 v24, v8, 0x3f65296c, v22
	v_add_f32_e32 v23, v184, v23
	s_delay_alu instid0(VALU_DEP_4)
	v_add_f32_e32 v12, v12, v213
	v_fmamk_f32 v21, v16, 0x3ee437d1, v20
	v_fmac_f32_e32 v120, v18, v194
	v_mul_f32_e32 v64, 0xbf4c4adb, v14
	v_fmamk_f32 v73, v8, 0x3f06c442, v72
	v_add_f32_e32 v12, v12, v209
	v_dual_fmamk_f32 v18, v16, 0x3f6eb680, v17 :: v_dual_add_f32 v9, v185, v9
	v_add_f32_e32 v24, v185, v24
	v_fma_f32 v13, 0x3f6eb680, v16, -v17
	s_delay_alu instid0(VALU_DEP_4) | instskip(SKIP_3) | instid1(VALU_DEP_4)
	v_add_f32_e32 v12, v12, v205
	v_fmamk_f32 v65, v16, 0xbf1a4643, v64
	v_dual_fmac_f32 v22, 0xbf65296c, v8 :: v_dual_add_f32 v73, v185, v73
	v_dual_add_f32 v6, v6, v7 :: v_dual_mul_f32 v7, 0xbf2c7751, v76
	v_add_f32_e32 v12, v12, v5
	s_delay_alu instid0(VALU_DEP_3) | instskip(SKIP_2) | instid1(VALU_DEP_4)
	v_dual_add_f32 v65, v184, v65 :: v_dual_add_f32 v22, v185, v22
	v_fma_f32 v67, 0xbf59a7d5, v16, -v67
	v_sub_f32_e32 v4, v4, v5
	v_add_f32_e32 v68, v12, v10
	v_mul_f32_e32 v12, 0xbf2c7751, v14
	v_dual_add_f32 v10, v184, v18 :: v_dual_add_f32 v75, v185, v75
	v_dual_add_f32 v18, v185, v19 :: v_dual_mul_f32 v5, 0x3f3d2fb0, v6
	s_delay_alu instid0(VALU_DEP_3)
	v_fmamk_f32 v17, v16, 0x3f3d2fb0, v12
	v_fma_f32 v12, 0x3f3d2fb0, v16, -v12
	v_add_f32_e32 v67, v184, v67
	v_add_f32_e32 v13, v184, v13
	v_fmamk_f32 v78, v4, 0x3f2c7751, v5
	v_add_f32_e32 v17, v184, v17
	v_add_f32_e32 v12, v184, v12
	v_fmac_f32_e32 v5, 0xbf2c7751, v4
	v_fmac_f32_e32 v26, 0xbf7ee86f, v8
	v_fmamk_f32 v19, v8, 0x3f2c7751, v15
	v_fmac_f32_e32 v15, 0xbf2c7751, v8
	v_fmac_f32_e32 v66, 0xbf4c4adb, v8
	v_dual_fmac_f32 v72, 0xbf06c442, v8 :: v_dual_add_f32 v5, v5, v18
	v_add_f32_e32 v26, v185, v26
	v_fmamk_f32 v8, v77, 0x3f3d2fb0, v7
	v_fma_f32 v7, 0x3f3d2fb0, v77, -v7
	v_mul_f32_e32 v60, 0xbf763a35, v14
	v_dual_mul_f32 v14, 0xbe3c28d5, v14 :: v_dual_add_f32 v19, v185, v19
	v_fma_f32 v20, 0x3ee437d1, v16, -v20
	s_delay_alu instid0(VALU_DEP_3) | instskip(SKIP_1) | instid1(VALU_DEP_4)
	v_dual_add_f32 v7, v7, v13 :: v_dual_fmamk_f32 v62, v16, 0xbe8c1d8e, v60
	v_fma_f32 v60, 0xbe8c1d8e, v16, -v60
	v_fmamk_f32 v74, v16, 0xbf7ba420, v14
	v_fma_f32 v14, 0xbf7ba420, v16, -v14
	v_mul_f32_e32 v13, 0xbf4c4adb, v76
	v_fma_f32 v64, 0xbf1a4643, v16, -v64
	v_mul_f32_e32 v16, 0xbf7ee86f, v76
	v_dual_add_f32 v20, v184, v20 :: v_dual_add_f32 v11, v78, v11
	v_add_f32_e32 v8, v8, v10
	v_mul_f32_e32 v78, 0x3dbcf732, v6
	s_delay_alu instid0(VALU_DEP_4) | instskip(SKIP_2) | instid1(VALU_DEP_3)
	v_fmamk_f32 v10, v77, 0x3dbcf732, v16
	v_fma_f32 v16, 0x3dbcf732, v77, -v16
	v_dual_mul_f32 v18, 0xbf1a4643, v6 :: v_dual_add_f32 v21, v184, v21
	v_dual_fmamk_f32 v79, v77, 0xbf1a4643, v13 :: v_dual_add_f32 v10, v10, v17
	s_delay_alu instid0(VALU_DEP_3) | instskip(NEXT) | instid1(VALU_DEP_3)
	v_add_f32_e32 v12, v16, v12
	v_fmamk_f32 v16, v4, 0x3f4c4adb, v18
	v_fmac_f32_e32 v18, 0xbf4c4adb, v4
	v_fmamk_f32 v17, v4, 0x3f7ee86f, v78
	v_dual_add_f32 v15, v185, v15 :: v_dual_add_f32 v60, v184, v60
	v_fmac_f32_e32 v78, 0xbf7ee86f, v4
	s_delay_alu instid0(VALU_DEP_3)
	v_dual_add_f32 v18, v18, v22 :: v_dual_add_f32 v17, v17, v19
	v_dual_add_f32 v62, v184, v62 :: v_dual_add_f32 v19, v79, v21
	v_mul_f32_e32 v21, 0xbe3c28d5, v76
	v_fma_f32 v13, 0xbf1a4643, v77, -v13
	v_add_f32_e32 v16, v16, v24
	v_dual_mul_f32 v24, 0xbf7ba420, v6 :: v_dual_add_f32 v15, v78, v15
	s_delay_alu instid0(VALU_DEP_4) | instskip(NEXT) | instid1(VALU_DEP_4)
	v_fmamk_f32 v78, v77, 0xbf7ba420, v21
	v_add_f32_e32 v13, v13, v20
	v_mul_f32_e32 v20, 0x3f06c442, v76
	s_delay_alu instid0(VALU_DEP_4) | instskip(NEXT) | instid1(VALU_DEP_4)
	v_fmamk_f32 v22, v4, 0x3e3c28d5, v24
	v_dual_add_f32 v64, v184, v64 :: v_dual_add_f32 v25, v78, v25
	v_fma_f32 v21, 0xbf7ba420, v77, -v21
	v_fmac_f32_e32 v24, 0xbe3c28d5, v4
	v_fmamk_f32 v78, v77, 0xbf59a7d5, v20
	v_dual_add_f32 v22, v22, v27 :: v_dual_mul_f32 v27, 0xbf59a7d5, v6
	s_delay_alu instid0(VALU_DEP_4) | instskip(NEXT) | instid1(VALU_DEP_4)
	v_add_f32_e32 v21, v21, v23
	v_add_f32_e32 v23, v24, v26
	s_delay_alu instid0(VALU_DEP_4)
	v_add_f32_e32 v24, v78, v62
	v_mul_f32_e32 v26, 0x3f763a35, v76
	v_fmamk_f32 v62, v4, 0xbf06c442, v27
	v_fma_f32 v20, 0xbf59a7d5, v77, -v20
	v_mul_f32_e32 v78, 0xbe8c1d8e, v6
	v_add_f32_e32 v72, v185, v72
	s_delay_alu instid0(VALU_DEP_4)
	v_dual_fmamk_f32 v79, v77, 0xbe8c1d8e, v26 :: v_dual_add_f32 v62, v62, v63
	v_dual_mul_f32 v63, 0x3f65296c, v76 :: v_dual_add_f32 v66, v185, v66
	v_dual_fmac_f32 v27, 0x3f06c442, v4 :: v_dual_add_f32 v14, v184, v14
	v_add_f32_e32 v20, v20, v60
	v_fmamk_f32 v60, v4, 0xbf763a35, v78
	v_fma_f32 v26, 0xbe8c1d8e, v77, -v26
	s_delay_alu instid0(VALU_DEP_4) | instskip(SKIP_1) | instid1(VALU_DEP_3)
	v_dual_add_f32 v27, v27, v61 :: v_dual_add_f32 v74, v184, v74
	v_dual_add_f32 v61, v79, v65 :: v_dual_fmac_f32 v78, 0x3f763a35, v4
	v_dual_mul_f32 v65, 0x3ee437d1, v6 :: v_dual_add_f32 v26, v26, v64
	v_add_f32_e32 v190, v220, v216
	v_sub_f32_e32 v184, v220, v216
	s_delay_alu instid0(VALU_DEP_4) | instskip(SKIP_3) | instid1(VALU_DEP_2)
	v_add_f32_e32 v64, v78, v66
	v_mul_f32_e32 v66, 0x3eb8f4ab, v76
	v_fmamk_f32 v76, v4, 0xbf65296c, v65
	v_fmac_f32_e32 v65, 0x3f65296c, v4
	v_add_f32_e32 v73, v76, v73
	s_delay_alu instid0(VALU_DEP_2) | instskip(NEXT) | instid1(VALU_DEP_1)
	v_dual_add_f32 v65, v65, v72 :: v_dual_mul_f32 v6, 0x3f6eb680, v6
	v_fmamk_f32 v72, v4, 0xbeb8f4ab, v6
	v_fmac_f32_e32 v6, 0x3eb8f4ab, v4
	v_sub_f32_e32 v4, v248, v205
	v_add_f32_e32 v60, v60, v70
	v_fmamk_f32 v70, v77, 0x3ee437d1, v63
	v_fma_f32 v63, 0x3ee437d1, v77, -v63
	v_add_f32_e32 v72, v72, v75
	v_add_f32_e32 v6, v6, v9
	s_delay_alu instid0(VALU_DEP_4) | instskip(NEXT) | instid1(VALU_DEP_4)
	v_dual_add_f32 v70, v70, v71 :: v_dual_fmamk_f32 v71, v77, 0x3f6eb680, v66
	v_add_f32_e32 v63, v63, v67
	v_fma_f32 v66, 0x3f6eb680, v77, -v66
	s_delay_alu instid0(VALU_DEP_3) | instskip(SKIP_3) | instid1(VALU_DEP_3)
	v_add_f32_e32 v67, v71, v74
	v_sub_f32_e32 v71, v245, v93
	v_add_f32_e32 v74, v245, v93
	v_add_f32_e32 v76, v248, v205
	v_dual_add_f32 v14, v66, v14 :: v_dual_mul_f32 v77, 0xbf65296c, v71
	s_delay_alu instid0(VALU_DEP_3) | instskip(SKIP_1) | instid1(VALU_DEP_3)
	v_mul_f32_e32 v78, 0x3ee437d1, v74
	v_mul_f32_e32 v79, 0xbf7ba420, v74
	v_fmamk_f32 v75, v76, 0x3ee437d1, v77
	s_delay_alu instid0(VALU_DEP_1) | instskip(SKIP_1) | instid1(VALU_DEP_2)
	v_dual_fmamk_f32 v9, v4, 0x3f65296c, v78 :: v_dual_add_f32 v8, v75, v8
	v_fma_f32 v75, 0x3ee437d1, v76, -v77
	v_add_f32_e32 v9, v9, v11
	v_mul_f32_e32 v66, 0xbf4c4adb, v71
	v_mul_f32_e32 v77, 0xbf1a4643, v74
	s_delay_alu instid0(VALU_DEP_4) | instskip(NEXT) | instid1(VALU_DEP_3)
	v_dual_add_f32 v7, v75, v7 :: v_dual_fmac_f32 v78, 0xbf65296c, v4
	v_fmamk_f32 v11, v76, 0xbf1a4643, v66
	v_mul_f32_e32 v75, 0x3e3c28d5, v71
	s_delay_alu instid0(VALU_DEP_2) | instskip(SKIP_2) | instid1(VALU_DEP_2)
	v_dual_add_f32 v5, v78, v5 :: v_dual_add_f32 v10, v11, v10
	v_fmamk_f32 v11, v4, 0x3f4c4adb, v77
	v_fmac_f32_e32 v77, 0xbf4c4adb, v4
	v_dual_fmamk_f32 v78, v76, 0xbf7ba420, v75 :: v_dual_add_f32 v11, v11, v17
	s_delay_alu instid0(VALU_DEP_2) | instskip(NEXT) | instid1(VALU_DEP_2)
	v_add_f32_e32 v15, v77, v15
	v_add_f32_e32 v17, v78, v19
	v_fmamk_f32 v19, v4, 0xbe3c28d5, v79
	v_fmac_f32_e32 v79, 0x3e3c28d5, v4
	v_mul_f32_e32 v77, 0xbe8c1d8e, v74
	v_fma_f32 v66, 0xbf1a4643, v76, -v66
	v_fma_f32 v75, 0xbf7ba420, v76, -v75
	v_add_f32_e32 v16, v19, v16
	v_mul_f32_e32 v78, 0x3f2c7751, v71
	s_delay_alu instid0(VALU_DEP_4) | instskip(NEXT) | instid1(VALU_DEP_4)
	v_add_f32_e32 v12, v66, v12
	v_dual_mul_f32 v66, 0x3f763a35, v71 :: v_dual_add_f32 v13, v75, v13
	v_fmamk_f32 v75, v4, 0xbf763a35, v77
	s_delay_alu instid0(VALU_DEP_1) | instskip(SKIP_2) | instid1(VALU_DEP_3)
	v_dual_fmamk_f32 v19, v76, 0xbe8c1d8e, v66 :: v_dual_add_f32 v22, v75, v22
	v_mul_f32_e32 v75, 0x3f3d2fb0, v74
	v_fmac_f32_e32 v77, 0x3f763a35, v4
	v_add_f32_e32 v19, v19, v25
	v_fma_f32 v25, 0xbe8c1d8e, v76, -v66
	v_fmamk_f32 v66, v76, 0x3f3d2fb0, v78
	s_delay_alu instid0(VALU_DEP_4) | instskip(SKIP_1) | instid1(VALU_DEP_4)
	v_dual_add_f32 v18, v79, v18 :: v_dual_add_f32 v23, v77, v23
	v_fma_f32 v77, 0x3f3d2fb0, v76, -v78
	v_add_f32_e32 v21, v25, v21
	s_delay_alu instid0(VALU_DEP_4) | instskip(SKIP_2) | instid1(VALU_DEP_3)
	v_dual_mul_f32 v25, 0xbeb8f4ab, v71 :: v_dual_add_f32 v24, v66, v24
	v_fmamk_f32 v66, v4, 0xbf2c7751, v75
	v_fmac_f32_e32 v75, 0x3f2c7751, v4
	v_dual_mul_f32 v79, 0x3f6eb680, v74 :: v_dual_fmamk_f32 v78, v76, 0x3f6eb680, v25
	v_add_f32_e32 v20, v77, v20
	v_fma_f32 v25, 0x3f6eb680, v76, -v25
	v_mul_f32_e32 v77, 0x3dbcf732, v74
	v_add_f32_e32 v27, v75, v27
	v_add_f32_e32 v61, v78, v61
	v_mul_f32_e32 v75, 0xbf7ee86f, v71
	s_delay_alu instid0(VALU_DEP_4)
	v_dual_add_f32 v25, v25, v26 :: v_dual_fmamk_f32 v26, v4, 0x3f7ee86f, v77
	v_mul_f32_e32 v71, 0xbf06c442, v71
	v_mul_f32_e32 v74, 0xbf59a7d5, v74
	v_add_f32_e32 v62, v66, v62
	v_fmamk_f32 v66, v4, 0x3eb8f4ab, v79
	v_dual_fmac_f32 v79, 0xbeb8f4ab, v4 :: v_dual_add_f32 v26, v26, v73
	v_dual_fmamk_f32 v73, v76, 0xbf59a7d5, v71 :: v_dual_add_f32 v78, v241, v200
	s_delay_alu instid0(VALU_DEP_3) | instskip(SKIP_2) | instid1(VALU_DEP_4)
	v_add_f32_e32 v60, v66, v60
	v_fmamk_f32 v66, v76, 0x3dbcf732, v75
	v_fmac_f32_e32 v77, 0xbf7ee86f, v4
	v_add_f32_e32 v67, v73, v67
	v_fmamk_f32 v73, v4, 0x3f06c442, v74
	v_fmac_f32_e32 v74, 0xbf06c442, v4
	v_sub_f32_e32 v4, v244, v209
	v_dual_add_f32 v64, v79, v64 :: v_dual_mul_f32 v79, 0x3dbcf732, v78
	v_add_f32_e32 v66, v66, v70
	v_fma_f32 v70, 0x3dbcf732, v76, -v75
	v_add_f32_e32 v75, v244, v209
	v_fma_f32 v71, 0xbf59a7d5, v76, -v71
	v_add_f32_e32 v72, v73, v72
	v_add_f32_e32 v65, v77, v65
	v_dual_add_f32 v63, v70, v63 :: v_dual_sub_f32 v70, v241, v200
	s_delay_alu instid0(VALU_DEP_4) | instskip(SKIP_1) | instid1(VALU_DEP_3)
	v_dual_add_f32 v14, v71, v14 :: v_dual_fmamk_f32 v71, v4, 0x3f7ee86f, v79
	v_add_f32_e32 v6, v74, v6
	v_mul_f32_e32 v73, 0xbe3c28d5, v70
	s_delay_alu instid0(VALU_DEP_3) | instskip(NEXT) | instid1(VALU_DEP_2)
	v_add_f32_e32 v9, v71, v9
	v_fmamk_f32 v71, v75, 0xbf7ba420, v73
	v_mul_f32_e32 v77, 0xbf7ee86f, v70
	s_delay_alu instid0(VALU_DEP_2) | instskip(NEXT) | instid1(VALU_DEP_2)
	v_add_f32_e32 v10, v71, v10
	v_fmamk_f32 v76, v75, 0x3dbcf732, v77
	v_fma_f32 v74, 0x3dbcf732, v75, -v77
	v_mul_f32_e32 v77, 0x3f763a35, v70
	v_fma_f32 v71, 0xbf7ba420, v75, -v73
	s_delay_alu instid0(VALU_DEP_3) | instskip(NEXT) | instid1(VALU_DEP_3)
	v_add_f32_e32 v7, v74, v7
	v_dual_fmamk_f32 v73, v75, 0xbe8c1d8e, v77 :: v_dual_add_f32 v8, v76, v8
	v_mul_f32_e32 v76, 0xbf7ba420, v78
	s_delay_alu instid0(VALU_DEP_4) | instskip(NEXT) | instid1(VALU_DEP_2)
	v_dual_add_f32 v12, v71, v12 :: v_dual_mul_f32 v71, 0x3eb8f4ab, v70
	v_dual_add_f32 v17, v73, v17 :: v_dual_fmamk_f32 v74, v4, 0x3e3c28d5, v76
	s_delay_alu instid0(VALU_DEP_1) | instskip(NEXT) | instid1(VALU_DEP_1)
	v_dual_fmac_f32 v76, 0xbe3c28d5, v4 :: v_dual_add_f32 v11, v74, v11
	v_add_f32_e32 v15, v76, v15
	v_fma_f32 v76, 0xbe8c1d8e, v75, -v77
	v_fmamk_f32 v77, v75, 0x3f6eb680, v71
	v_fma_f32 v71, 0x3f6eb680, v75, -v71
	v_fmac_f32_e32 v79, 0xbf7ee86f, v4
	s_delay_alu instid0(VALU_DEP_4) | instskip(NEXT) | instid1(VALU_DEP_4)
	v_dual_add_f32 v13, v76, v13 :: v_dual_mul_f32 v76, 0x3ee437d1, v78
	v_add_f32_e32 v19, v77, v19
	s_delay_alu instid0(VALU_DEP_4)
	v_add_f32_e32 v21, v71, v21
	v_mul_f32_e32 v77, 0xbf06c442, v70
	v_add_f32_e32 v5, v79, v5
	v_fmamk_f32 v71, v4, 0x3f65296c, v76
	v_fmac_f32_e32 v76, 0xbf65296c, v4
	v_mul_f32_e32 v74, 0xbe8c1d8e, v78
	v_mul_f32_e32 v79, 0x3f6eb680, v78
	s_delay_alu instid0(VALU_DEP_3) | instskip(NEXT) | instid1(VALU_DEP_3)
	v_add_f32_e32 v27, v76, v27
	v_fmamk_f32 v73, v4, 0xbf763a35, v74
	v_fma_f32 v76, 0xbf59a7d5, v75, -v77
	s_delay_alu instid0(VALU_DEP_1) | instskip(NEXT) | instid1(VALU_DEP_1)
	v_dual_fmac_f32 v74, 0x3f763a35, v4 :: v_dual_add_f32 v25, v76, v25
	v_add_f32_e32 v18, v74, v18
	v_mul_f32_e32 v74, 0xbf65296c, v70
	v_dual_add_f32 v16, v73, v16 :: v_dual_fmamk_f32 v73, v4, 0xbeb8f4ab, v79
	s_delay_alu instid0(VALU_DEP_1) | instskip(NEXT) | instid1(VALU_DEP_3)
	v_dual_fmac_f32 v79, 0x3eb8f4ab, v4 :: v_dual_add_f32 v22, v73, v22
	v_fmamk_f32 v73, v75, 0x3ee437d1, v74
	s_delay_alu instid0(VALU_DEP_2) | instskip(SKIP_2) | instid1(VALU_DEP_4)
	v_add_f32_e32 v23, v79, v23
	v_mul_f32_e32 v79, 0xbf1a4643, v78
	v_add_f32_e32 v62, v71, v62
	v_dual_fmamk_f32 v71, v75, 0xbf59a7d5, v77 :: v_dual_add_f32 v24, v73, v24
	v_fma_f32 v73, 0x3ee437d1, v75, -v74
	s_delay_alu instid0(VALU_DEP_2) | instskip(NEXT) | instid1(VALU_DEP_2)
	v_dual_mul_f32 v74, 0xbf59a7d5, v78 :: v_dual_add_f32 v61, v71, v61
	v_dual_add_f32 v20, v73, v20 :: v_dual_mul_f32 v73, 0x3f4c4adb, v70
	s_delay_alu instid0(VALU_DEP_2) | instskip(SKIP_1) | instid1(VALU_DEP_3)
	v_fmamk_f32 v71, v4, 0x3f06c442, v74
	v_fmac_f32_e32 v74, 0xbf06c442, v4
	v_fmamk_f32 v77, v75, 0xbf1a4643, v73
	v_fma_f32 v73, 0xbf1a4643, v75, -v73
	s_delay_alu instid0(VALU_DEP_4) | instskip(NEXT) | instid1(VALU_DEP_3)
	v_dual_add_f32 v60, v71, v60 :: v_dual_fmamk_f32 v71, v4, 0xbf4c4adb, v79
	v_dual_fmac_f32 v79, 0x3f4c4adb, v4 :: v_dual_add_f32 v66, v77, v66
	s_delay_alu instid0(VALU_DEP_3) | instskip(SKIP_3) | instid1(VALU_DEP_3)
	v_add_f32_e32 v63, v73, v63
	v_dual_sub_f32 v73, v237, v204 :: v_dual_mul_f32 v70, 0x3f2c7751, v70
	v_add_f32_e32 v64, v74, v64
	v_mul_f32_e32 v74, 0x3f3d2fb0, v78
	v_dual_add_f32 v26, v71, v26 :: v_dual_mul_f32 v77, 0xbf763a35, v73
	s_delay_alu instid0(VALU_DEP_4) | instskip(SKIP_1) | instid1(VALU_DEP_4)
	v_fmamk_f32 v71, v75, 0x3f3d2fb0, v70
	v_fma_f32 v70, 0x3f3d2fb0, v75, -v70
	v_fmamk_f32 v76, v4, 0xbf2c7751, v74
	v_fmac_f32_e32 v74, 0x3f2c7751, v4
	s_delay_alu instid0(VALU_DEP_4) | instskip(SKIP_1) | instid1(VALU_DEP_4)
	v_dual_sub_f32 v4, v240, v213 :: v_dual_add_f32 v67, v71, v67
	v_add_f32_e32 v65, v79, v65
	v_add_f32_e32 v71, v76, v72
	;; [unrolled: 1-line block ×3, first 2 shown]
	s_delay_alu instid0(VALU_DEP_1) | instskip(SKIP_1) | instid1(VALU_DEP_2)
	v_dual_add_f32 v72, v240, v213 :: v_dual_mul_f32 v75, 0xbe8c1d8e, v76
	v_add_f32_e32 v6, v74, v6
	v_fmamk_f32 v78, v72, 0xbe8c1d8e, v77
	v_fma_f32 v77, 0xbe8c1d8e, v72, -v77
	s_delay_alu instid0(VALU_DEP_1) | instskip(NEXT) | instid1(VALU_DEP_1)
	v_dual_fmamk_f32 v74, v4, 0x3f763a35, v75 :: v_dual_add_f32 v7, v77, v7
	v_dual_add_f32 v9, v74, v9 :: v_dual_mul_f32 v74, 0xbf59a7d5, v76
	s_delay_alu instid0(VALU_DEP_1) | instskip(NEXT) | instid1(VALU_DEP_1)
	v_fmamk_f32 v77, v4, 0xbf06c442, v74
	v_dual_fmac_f32 v74, 0x3f06c442, v4 :: v_dual_add_f32 v11, v77, v11
	s_delay_alu instid0(VALU_DEP_1) | instskip(NEXT) | instid1(VALU_DEP_1)
	v_dual_add_f32 v15, v74, v15 :: v_dual_mul_f32 v74, 0xbf65296c, v73
	v_fmamk_f32 v77, v72, 0x3ee437d1, v74
	v_fma_f32 v74, 0x3ee437d1, v72, -v74
	s_delay_alu instid0(VALU_DEP_2) | instskip(SKIP_2) | instid1(VALU_DEP_4)
	v_dual_add_f32 v19, v77, v19 :: v_dual_add_f32 v14, v70, v14
	v_fmac_f32_e32 v75, 0xbf763a35, v4
	v_mul_f32_e32 v70, 0x3f06c442, v73
	v_add_f32_e32 v21, v74, v21
	s_delay_alu instid0(VALU_DEP_3) | instskip(SKIP_1) | instid1(VALU_DEP_1)
	v_add_f32_e32 v5, v75, v5
	v_mul_f32_e32 v75, 0x3f2c7751, v73
	v_fmamk_f32 v79, v72, 0x3f3d2fb0, v75
	v_fma_f32 v75, 0x3f3d2fb0, v72, -v75
	s_delay_alu instid0(VALU_DEP_2) | instskip(NEXT) | instid1(VALU_DEP_2)
	v_add_f32_e32 v17, v79, v17
	v_dual_add_f32 v13, v75, v13 :: v_dual_add_f32 v8, v78, v8
	v_mul_f32_e32 v75, 0xbe3c28d5, v73
	v_fmamk_f32 v78, v72, 0xbf59a7d5, v70
	v_fma_f32 v70, 0xbf59a7d5, v72, -v70
	s_delay_alu instid0(VALU_DEP_2) | instskip(SKIP_1) | instid1(VALU_DEP_3)
	v_dual_fmamk_f32 v77, v72, 0xbf7ba420, v75 :: v_dual_add_f32 v10, v78, v10
	v_mul_f32_e32 v78, 0x3f3d2fb0, v76
	v_add_f32_e32 v12, v70, v12
	v_fma_f32 v75, 0xbf7ba420, v72, -v75
	s_delay_alu instid0(VALU_DEP_4) | instskip(SKIP_4) | instid1(VALU_DEP_3)
	v_add_f32_e32 v24, v77, v24
	v_mul_f32_e32 v77, 0x3dbcf732, v76
	v_fmamk_f32 v70, v4, 0xbf2c7751, v78
	v_fmac_f32_e32 v78, 0x3f2c7751, v4
	v_dual_add_f32 v20, v75, v20 :: v_dual_mul_f32 v75, 0xbeb8f4ab, v73
	v_add_f32_e32 v16, v70, v16
	v_mul_f32_e32 v70, 0x3ee437d1, v76
	s_delay_alu instid0(VALU_DEP_4) | instskip(NEXT) | instid1(VALU_DEP_2)
	v_add_f32_e32 v18, v78, v18
	v_fmamk_f32 v78, v4, 0x3f65296c, v70
	v_fmac_f32_e32 v70, 0xbf65296c, v4
	s_delay_alu instid0(VALU_DEP_2) | instskip(NEXT) | instid1(VALU_DEP_2)
	v_add_f32_e32 v22, v78, v22
	v_dual_mul_f32 v78, 0xbf7ba420, v76 :: v_dual_add_f32 v23, v70, v23
	v_mul_f32_e32 v70, 0x3f7ee86f, v73
	s_delay_alu instid0(VALU_DEP_2) | instskip(SKIP_1) | instid1(VALU_DEP_3)
	v_fmamk_f32 v74, v4, 0x3e3c28d5, v78
	v_fmac_f32_e32 v78, 0xbe3c28d5, v4
	v_fmamk_f32 v79, v72, 0x3dbcf732, v70
	v_fma_f32 v70, 0x3dbcf732, v72, -v70
	s_delay_alu instid0(VALU_DEP_3) | instskip(NEXT) | instid1(VALU_DEP_2)
	v_dual_add_f32 v27, v78, v27 :: v_dual_fmamk_f32 v78, v72, 0x3f6eb680, v75
	v_add_f32_e32 v25, v70, v25
	v_mul_f32_e32 v70, 0xbf4c4adb, v73
	v_add_f32_e32 v62, v74, v62
	v_fmamk_f32 v74, v4, 0xbf7ee86f, v77
	v_fmac_f32_e32 v77, 0x3f7ee86f, v4
	v_fma_f32 v75, 0x3f6eb680, v72, -v75
	s_delay_alu instid0(VALU_DEP_3) | instskip(NEXT) | instid1(VALU_DEP_2)
	v_dual_add_f32 v61, v79, v61 :: v_dual_add_f32 v60, v74, v60
	v_dual_mul_f32 v74, 0x3f6eb680, v76 :: v_dual_add_f32 v63, v75, v63
	s_delay_alu instid0(VALU_DEP_1) | instskip(SKIP_1) | instid1(VALU_DEP_2)
	v_fmamk_f32 v73, v4, 0x3eb8f4ab, v74
	v_fmac_f32_e32 v74, 0xbeb8f4ab, v4
	v_dual_add_f32 v26, v73, v26 :: v_dual_mul_f32 v73, 0xbf1a4643, v76
	s_delay_alu instid0(VALU_DEP_2) | instskip(NEXT) | instid1(VALU_DEP_2)
	v_add_f32_e32 v65, v74, v65
	v_fmamk_f32 v75, v4, 0x3f4c4adb, v73
	v_dual_fmac_f32 v73, 0xbf4c4adb, v4 :: v_dual_sub_f32 v4, v236, v217
	v_sub_f32_e32 v74, v233, v208
	v_add_f32_e32 v76, v236, v217
	v_dual_add_f32 v64, v77, v64 :: v_dual_fmamk_f32 v77, v72, 0xbf1a4643, v70
	v_fma_f32 v70, 0xbf1a4643, v72, -v70
	v_dual_add_f32 v72, v233, v208 :: v_dual_add_f32 v71, v75, v71
	v_add_f32_e32 v6, v73, v6
	s_delay_alu instid0(VALU_DEP_4) | instskip(SKIP_3) | instid1(VALU_DEP_3)
	v_add_f32_e32 v67, v77, v67
	v_mul_f32_e32 v77, 0xbf4c4adb, v74
	v_mul_f32_e32 v73, 0x3f763a35, v74
	v_dual_mul_f32 v79, 0x3f6eb680, v72 :: v_dual_add_f32 v66, v78, v66
	v_dual_mul_f32 v78, 0xbf1a4643, v72 :: v_dual_fmamk_f32 v75, v76, 0xbf1a4643, v77
	s_delay_alu instid0(VALU_DEP_1) | instskip(SKIP_2) | instid1(VALU_DEP_4)
	v_add_f32_e32 v8, v75, v8
	v_fma_f32 v75, 0xbf1a4643, v76, -v77
	v_dual_mul_f32 v77, 0xbe8c1d8e, v72 :: v_dual_add_f32 v14, v70, v14
	v_fmamk_f32 v70, v4, 0x3f4c4adb, v78
	s_delay_alu instid0(VALU_DEP_3) | instskip(SKIP_1) | instid1(VALU_DEP_3)
	v_dual_fmac_f32 v78, 0xbf4c4adb, v4 :: v_dual_add_f32 v7, v75, v7
	v_mul_f32_e32 v75, 0xbeb8f4ab, v74
	v_dual_add_f32 v9, v70, v9 :: v_dual_fmamk_f32 v70, v76, 0xbe8c1d8e, v73
	s_delay_alu instid0(VALU_DEP_2) | instskip(SKIP_2) | instid1(VALU_DEP_4)
	v_dual_add_f32 v5, v78, v5 :: v_dual_fmamk_f32 v78, v76, 0x3f6eb680, v75
	v_fma_f32 v75, 0x3f6eb680, v76, -v75
	v_fma_f32 v73, 0xbe8c1d8e, v76, -v73
	v_add_f32_e32 v10, v70, v10
	v_fmamk_f32 v70, v4, 0xbf763a35, v77
	v_fmac_f32_e32 v77, 0x3f763a35, v4
	v_add_f32_e32 v13, v75, v13
	v_add_f32_e32 v17, v78, v17
	s_delay_alu instid0(VALU_DEP_4) | instskip(NEXT) | instid1(VALU_DEP_4)
	v_add_f32_e32 v11, v70, v11
	v_add_f32_e32 v15, v77, v15
	v_mul_f32_e32 v77, 0xbf59a7d5, v72
	s_delay_alu instid0(VALU_DEP_1) | instskip(NEXT) | instid1(VALU_DEP_1)
	v_fmamk_f32 v75, v4, 0x3f06c442, v77
	v_dual_add_f32 v22, v75, v22 :: v_dual_mul_f32 v75, 0x3dbcf732, v72
	v_dual_add_f32 v12, v73, v12 :: v_dual_mul_f32 v73, 0xbf06c442, v74
	v_fmamk_f32 v70, v4, 0x3eb8f4ab, v79
	v_fmac_f32_e32 v79, 0xbeb8f4ab, v4
	v_mul_f32_e32 v78, 0x3f7ee86f, v74
	s_delay_alu instid0(VALU_DEP_2) | instskip(SKIP_2) | instid1(VALU_DEP_3)
	v_dual_fmac_f32 v77, 0xbf06c442, v4 :: v_dual_add_f32 v18, v79, v18
	v_mul_f32_e32 v79, 0x3f3d2fb0, v72
	v_add_f32_e32 v16, v70, v16
	v_dual_fmamk_f32 v70, v76, 0xbf59a7d5, v73 :: v_dual_add_f32 v23, v77, v23
	s_delay_alu instid0(VALU_DEP_1) | instskip(SKIP_2) | instid1(VALU_DEP_1)
	v_add_f32_e32 v19, v70, v19
	v_fma_f32 v70, 0xbf59a7d5, v76, -v73
	v_fmamk_f32 v73, v76, 0x3dbcf732, v78
	v_dual_add_f32 v21, v70, v21 :: v_dual_add_f32 v24, v73, v24
	v_fmamk_f32 v73, v4, 0xbf7ee86f, v75
	v_fmac_f32_e32 v75, 0x3f7ee86f, v4
	v_fma_f32 v77, 0x3dbcf732, v76, -v78
	s_delay_alu instid0(VALU_DEP_3) | instskip(NEXT) | instid1(VALU_DEP_3)
	v_add_f32_e32 v62, v73, v62
	v_dual_mul_f32 v70, 0xbf2c7751, v74 :: v_dual_add_f32 v27, v75, v27
	v_fmamk_f32 v73, v4, 0x3f2c7751, v79
	v_fmac_f32_e32 v79, 0xbf2c7751, v4
	v_mul_f32_e32 v75, 0xbe3c28d5, v74
	s_delay_alu instid0(VALU_DEP_4) | instskip(SKIP_2) | instid1(VALU_DEP_4)
	v_fmamk_f32 v78, v76, 0x3f3d2fb0, v70
	v_add_f32_e32 v20, v77, v20
	v_fma_f32 v70, 0x3f3d2fb0, v76, -v70
	v_dual_add_f32 v60, v73, v60 :: v_dual_fmamk_f32 v73, v76, 0xbf7ba420, v75
	v_mul_f32_e32 v77, 0xbf7ba420, v72
	s_delay_alu instid0(VALU_DEP_3) | instskip(SKIP_1) | instid1(VALU_DEP_4)
	v_dual_mul_f32 v74, 0x3f65296c, v74 :: v_dual_add_f32 v25, v70, v25
	v_mul_f32_e32 v72, 0x3ee437d1, v72
	v_add_f32_e32 v66, v73, v66
	s_delay_alu instid0(VALU_DEP_4) | instskip(SKIP_2) | instid1(VALU_DEP_3)
	v_fmamk_f32 v70, v4, 0x3e3c28d5, v77
	v_fma_f32 v73, 0xbf7ba420, v76, -v75
	v_fmac_f32_e32 v77, 0xbe3c28d5, v4
	v_dual_add_f32 v75, v232, v229 :: v_dual_add_f32 v26, v70, v26
	s_delay_alu instid0(VALU_DEP_3) | instskip(SKIP_1) | instid1(VALU_DEP_4)
	v_dual_fmamk_f32 v70, v76, 0x3ee437d1, v74 :: v_dual_add_f32 v63, v73, v63
	v_sub_f32_e32 v73, v225, v212
	v_dual_add_f32 v64, v79, v64 :: v_dual_add_f32 v65, v77, v65
	s_delay_alu instid0(VALU_DEP_3) | instskip(SKIP_1) | instid1(VALU_DEP_4)
	v_add_f32_e32 v67, v70, v67
	v_add_f32_e32 v61, v78, v61
	v_mul_f32_e32 v77, 0xbf06c442, v73
	v_fmamk_f32 v70, v4, 0xbf65296c, v72
	v_fmac_f32_e32 v72, 0x3f65296c, v4
	v_sub_f32_e32 v4, v232, v229
	v_add_f32_e32 v78, v225, v212
	s_delay_alu instid0(VALU_DEP_1) | instskip(NEXT) | instid1(VALU_DEP_1)
	v_dual_mul_f32 v79, 0xbf59a7d5, v78 :: v_dual_add_f32 v70, v70, v71
	v_fmamk_f32 v71, v4, 0x3f06c442, v79
	v_fmac_f32_e32 v79, 0xbf06c442, v4
	s_delay_alu instid0(VALU_DEP_2) | instskip(NEXT) | instid1(VALU_DEP_2)
	v_add_f32_e32 v9, v71, v9
	v_add_f32_e32 v5, v79, v5
	v_fma_f32 v74, 0x3ee437d1, v76, -v74
	v_fmamk_f32 v76, v75, 0xbf59a7d5, v77
	v_mul_f32_e32 v79, 0xbf1a4643, v78
	s_delay_alu instid0(VALU_DEP_3) | instskip(NEXT) | instid1(VALU_DEP_3)
	v_add_f32_e32 v14, v74, v14
	v_add_f32_e32 v8, v76, v8
	v_fma_f32 v74, 0xbf59a7d5, v75, -v77
	v_mul_f32_e32 v76, 0x3ee437d1, v78
	v_mul_f32_e32 v77, 0xbf7ee86f, v73
	s_delay_alu instid0(VALU_DEP_2) | instskip(SKIP_1) | instid1(VALU_DEP_1)
	v_dual_add_f32 v7, v74, v7 :: v_dual_fmamk_f32 v74, v4, 0xbf65296c, v76
	v_fmac_f32_e32 v76, 0x3f65296c, v4
	v_add_f32_e32 v15, v76, v15
	s_delay_alu instid0(VALU_DEP_4) | instskip(NEXT) | instid1(VALU_DEP_1)
	v_fma_f32 v76, 0x3dbcf732, v75, -v77
	v_add_f32_e32 v13, v76, v13
	v_add_f32_e32 v6, v72, v6
	v_mul_f32_e32 v72, 0x3f65296c, v73
	v_mul_f32_e32 v76, 0x3f6eb680, v78
	s_delay_alu instid0(VALU_DEP_2) | instskip(NEXT) | instid1(VALU_DEP_1)
	v_fmamk_f32 v71, v75, 0x3ee437d1, v72
	v_add_f32_e32 v10, v71, v10
	v_fma_f32 v71, 0x3ee437d1, v75, -v72
	v_fmamk_f32 v72, v75, 0x3dbcf732, v77
	s_delay_alu instid0(VALU_DEP_2) | instskip(NEXT) | instid1(VALU_DEP_1)
	v_dual_add_f32 v12, v71, v12 :: v_dual_mul_f32 v71, 0x3f4c4adb, v73
	v_fmamk_f32 v77, v75, 0xbf1a4643, v71
	v_fma_f32 v71, 0xbf1a4643, v75, -v71
	s_delay_alu instid0(VALU_DEP_2) | instskip(NEXT) | instid1(VALU_DEP_2)
	v_add_f32_e32 v19, v77, v19
	v_add_f32_e32 v21, v71, v21
	v_fmamk_f32 v71, v4, 0x3eb8f4ab, v76
	v_fmac_f32_e32 v76, 0xbeb8f4ab, v4
	v_mul_f32_e32 v77, 0xbe3c28d5, v73
	s_delay_alu instid0(VALU_DEP_3) | instskip(SKIP_1) | instid1(VALU_DEP_4)
	v_add_f32_e32 v71, v71, v62
	v_dual_add_f32 v11, v74, v11 :: v_dual_mul_f32 v74, 0x3dbcf732, v78
	v_add_f32_e32 v27, v76, v27
	s_delay_alu instid0(VALU_DEP_4) | instskip(NEXT) | instid1(VALU_DEP_3)
	v_dual_add_f32 v17, v72, v17 :: v_dual_fmamk_f32 v62, v75, 0xbf7ba420, v77
	v_fmamk_f32 v72, v4, 0x3f7ee86f, v74
	v_fmac_f32_e32 v74, 0xbf7ee86f, v4
	s_delay_alu instid0(VALU_DEP_2) | instskip(NEXT) | instid1(VALU_DEP_2)
	v_add_f32_e32 v16, v72, v16
	v_add_f32_e32 v18, v74, v18
	v_fmamk_f32 v72, v4, 0xbf4c4adb, v79
	v_mul_f32_e32 v74, 0xbeb8f4ab, v73
	s_delay_alu instid0(VALU_DEP_2) | instskip(NEXT) | instid1(VALU_DEP_2)
	v_dual_fmac_f32 v79, 0x3f4c4adb, v4 :: v_dual_add_f32 v22, v72, v22
	v_fmamk_f32 v72, v75, 0x3f6eb680, v74
	s_delay_alu instid0(VALU_DEP_2) | instskip(NEXT) | instid1(VALU_DEP_2)
	v_add_f32_e32 v23, v79, v23
	v_dual_mul_f32 v79, 0x3f3d2fb0, v78 :: v_dual_add_f32 v24, v72, v24
	v_fma_f32 v72, 0x3f6eb680, v75, -v74
	v_mul_f32_e32 v74, 0xbf7ba420, v78
	v_add_f32_e32 v76, v62, v61
	v_fma_f32 v62, 0xbf7ba420, v75, -v77
	s_delay_alu instid0(VALU_DEP_4) | instskip(SKIP_2) | instid1(VALU_DEP_4)
	v_add_f32_e32 v20, v72, v20
	v_mul_f32_e32 v72, 0x3f2c7751, v73
	v_fmamk_f32 v61, v4, 0x3e3c28d5, v74
	v_dual_fmac_f32 v74, 0xbe3c28d5, v4 :: v_dual_add_f32 v25, v62, v25
	s_delay_alu instid0(VALU_DEP_2) | instskip(SKIP_4) | instid1(VALU_DEP_3)
	v_dual_mul_f32 v62, 0xbe8c1d8e, v78 :: v_dual_add_f32 v81, v61, v60
	v_fmamk_f32 v60, v4, 0xbf2c7751, v79
	v_fmac_f32_e32 v79, 0x3f2c7751, v4
	v_fmamk_f32 v77, v75, 0x3f3d2fb0, v72
	v_mul_f32_e32 v61, 0xbf763a35, v73
	v_add_f32_e32 v79, v79, v65
	s_delay_alu instid0(VALU_DEP_3) | instskip(SKIP_4) | instid1(VALU_DEP_1)
	v_dual_add_f32 v77, v77, v66 :: v_dual_fmamk_f32 v66, v4, 0x3f763a35, v62
	v_fmac_f32_e32 v62, 0xbf763a35, v4
	v_sub_f32_e32 v4, v228, v224
	v_add_f32_e32 v74, v74, v64
	v_fma_f32 v64, 0x3f3d2fb0, v75, -v72
	v_dual_add_f32 v78, v64, v63 :: v_dual_mul_f32 v63, 0xbf7ba420, v190
	v_add_f32_e32 v26, v60, v26
	v_fmamk_f32 v60, v75, 0xbe8c1d8e, v61
	v_fma_f32 v61, 0xbe8c1d8e, v75, -v61
	s_delay_alu instid0(VALU_DEP_2) | instskip(NEXT) | instid1(VALU_DEP_2)
	v_dual_add_f32 v185, v60, v67 :: v_dual_mul_f32 v60, 0xbe3c28d5, v184
	v_dual_add_f32 v14, v61, v14 :: v_dual_fmamk_f32 v61, v4, 0x3e3c28d5, v63
	v_fmac_f32_e32 v63, 0xbe3c28d5, v4
	s_delay_alu instid0(VALU_DEP_3) | instskip(NEXT) | instid1(VALU_DEP_3)
	v_fmamk_f32 v64, v189, 0xbf7ba420, v60
	v_add_f32_e32 v93, v61, v9
	v_mul_f32_e32 v9, 0x3f6eb680, v190
	v_add_f32_e32 v6, v62, v6
	s_delay_alu instid0(VALU_DEP_4) | instskip(SKIP_1) | instid1(VALU_DEP_1)
	v_add_f32_e32 v92, v64, v8
	v_fma_f32 v8, 0xbf7ba420, v189, -v60
	v_dual_add_f32 v61, v63, v5 :: v_dual_add_f32 v60, v8, v7
	v_fmamk_f32 v7, v4, 0xbeb8f4ab, v9
	v_fmac_f32_e32 v9, 0x3eb8f4ab, v4
	s_delay_alu instid0(VALU_DEP_2) | instskip(NEXT) | instid1(VALU_DEP_2)
	v_add_f32_e32 v89, v7, v11
	v_add_f32_e32 v63, v9, v15
	v_mul_f32_e32 v9, 0x3f3d2fb0, v190
	v_mul_f32_e32 v62, 0x3eb8f4ab, v184
	;; [unrolled: 1-line block ×3, first 2 shown]
	s_delay_alu instid0(VALU_DEP_2) | instskip(SKIP_1) | instid1(VALU_DEP_2)
	v_fmamk_f32 v64, v189, 0x3f6eb680, v62
	v_fma_f32 v8, 0x3f6eb680, v189, -v62
	v_add_f32_e32 v88, v64, v10
	s_delay_alu instid0(VALU_DEP_4)
	v_fmamk_f32 v64, v189, 0xbf59a7d5, v5
	v_fma_f32 v5, 0xbf59a7d5, v189, -v5
	v_mul_f32_e32 v10, 0xbf59a7d5, v190
	v_add_f32_e32 v62, v8, v12
	v_mul_f32_e32 v8, 0x3f2c7751, v184
	v_add_f32_e32 v90, v64, v17
	v_dual_add_f32 v64, v5, v13 :: v_dual_fmamk_f32 v5, v4, 0xbf2c7751, v9
	v_fmamk_f32 v7, v4, 0x3f06c442, v10
	s_delay_alu instid0(VALU_DEP_2) | instskip(NEXT) | instid1(VALU_DEP_2)
	v_add_f32_e32 v85, v5, v22
	v_dual_add_f32 v188, v66, v70 :: v_dual_add_f32 v91, v7, v16
	v_fmamk_f32 v7, v189, 0x3f3d2fb0, v8
	v_mul_f32_e32 v5, 0xbf4c4adb, v184
	v_fma_f32 v8, 0x3f3d2fb0, v189, -v8
	s_delay_alu instid0(VALU_DEP_3) | instskip(SKIP_1) | instid1(VALU_DEP_3)
	v_dual_add_f32 v84, v7, v19 :: v_dual_mul_f32 v7, 0xbf1a4643, v190
	v_fmac_f32_e32 v10, 0xbf06c442, v4
	v_dual_add_f32 v66, v8, v21 :: v_dual_fmac_f32 v9, 0x3f2c7751, v4
	s_delay_alu instid0(VALU_DEP_3) | instskip(NEXT) | instid1(VALU_DEP_3)
	v_fmamk_f32 v11, v4, 0x3f4c4adb, v7
	v_dual_add_f32 v65, v10, v18 :: v_dual_fmamk_f32 v10, v189, 0xbf1a4643, v5
	v_fma_f32 v5, 0xbf1a4643, v189, -v5
	s_delay_alu instid0(VALU_DEP_4) | instskip(NEXT) | instid1(VALU_DEP_4)
	v_add_f32_e32 v67, v9, v23
	v_add_f32_e32 v87, v11, v71
	s_delay_alu instid0(VALU_DEP_4) | instskip(SKIP_3) | instid1(VALU_DEP_4)
	v_dual_add_f32 v9, v187, v94 :: v_dual_add_f32 v86, v10, v24
	v_mul_f32_e32 v10, 0x3ee437d1, v190
	v_add_f32_e32 v8, v186, v95
	v_add_f32_e32 v70, v5, v20
	;; [unrolled: 1-line block ×3, first 2 shown]
	v_fmac_f32_e32 v7, 0xbf4c4adb, v4
	v_fmamk_f32 v11, v4, 0xbf65296c, v10
	v_add_f32_e32 v8, v8, v114
	s_delay_alu instid0(VALU_DEP_3) | instskip(NEXT) | instid1(VALU_DEP_3)
	v_dual_fmac_f32 v10, 0x3f65296c, v4 :: v_dual_add_f32 v71, v7, v27
	v_add_f32_e32 v81, v11, v81
	s_delay_alu instid0(VALU_DEP_3) | instskip(NEXT) | instid1(VALU_DEP_3)
	v_dual_add_f32 v5, v8, v109 :: v_dual_add_f32 v8, v9, v111
	v_add_f32_e32 v73, v10, v74
	v_mul_f32_e32 v9, 0x3f65296c, v184
	s_delay_alu instid0(VALU_DEP_3) | instskip(NEXT) | instid1(VALU_DEP_2)
	v_add_f32_e32 v5, v5, v104
	v_fmamk_f32 v7, v189, 0x3ee437d1, v9
	v_fma_f32 v9, 0x3ee437d1, v189, -v9
	s_delay_alu instid0(VALU_DEP_2) | instskip(NEXT) | instid1(VALU_DEP_2)
	v_dual_add_f32 v5, v5, v102 :: v_dual_add_f32 v80, v7, v76
	v_add_f32_e32 v72, v9, v25
	s_delay_alu instid0(VALU_DEP_2) | instskip(SKIP_1) | instid1(VALU_DEP_2)
	v_add_f32_e32 v5, v5, v98
	v_mul_f32_e32 v9, 0xbe8c1d8e, v190
	v_add_f32_e32 v5, v5, v2
	s_delay_alu instid0(VALU_DEP_1) | instskip(NEXT) | instid1(VALU_DEP_1)
	v_add_f32_e32 v5, v5, v3
	v_dual_add_f32 v8, v8, v107 :: v_dual_add_f32 v5, v5, v97
	s_delay_alu instid0(VALU_DEP_1) | instskip(NEXT) | instid1(VALU_DEP_1)
	v_dual_add_f32 v8, v8, v106 :: v_dual_add_f32 v5, v5, v103
	v_add_f32_e32 v7, v8, v100
	v_mul_f32_e32 v8, 0xbf763a35, v184
	v_fmamk_f32 v10, v4, 0x3f763a35, v9
	v_fmac_f32_e32 v9, 0xbf763a35, v4
	v_add_f32_e32 v5, v5, v108
	v_add_f32_e32 v7, v7, v101
	v_fmamk_f32 v11, v189, 0xbe8c1d8e, v8
	v_fma_f32 v8, 0xbe8c1d8e, v189, -v8
	v_add_f32_e32 v83, v10, v26
	v_add_f32_e32 v5, v5, v112
	;; [unrolled: 1-line block ×4, first 2 shown]
	v_dual_add_f32 v74, v8, v78 :: v_dual_add_f32 v75, v9, v79
	v_mul_f32_e32 v11, 0x3dbcf732, v190
	s_delay_alu instid0(VALU_DEP_4) | instskip(NEXT) | instid1(VALU_DEP_1)
	v_add_f32_e32 v7, v7, v99
	v_dual_add_f32 v7, v7, v105 :: v_dual_mul_f32 v10, 0x3f7ee86f, v184
	s_delay_alu instid0(VALU_DEP_1) | instskip(NEXT) | instid1(VALU_DEP_2)
	v_dual_add_f32 v184, v5, v115 :: v_dual_add_f32 v7, v7, v110
	v_fmamk_f32 v8, v189, 0x3dbcf732, v10
	v_fma_f32 v9, 0x3dbcf732, v189, -v10
	s_delay_alu instid0(VALU_DEP_3)
	v_add_f32_e32 v5, v184, v118
	v_sub_f32_e32 v10, v95, v122
	v_add_f32_e32 v7, v7, v113
	v_add_f32_e32 v76, v8, v185
	v_fmamk_f32 v8, v4, 0xbf7ee86f, v11
	v_dual_fmac_f32 v11, 0x3f7ee86f, v4 :: v_dual_sub_f32 v4, v94, v123
	s_delay_alu instid0(VALU_DEP_4) | instskip(NEXT) | instid1(VALU_DEP_3)
	v_dual_add_f32 v185, v7, v116 :: v_dual_add_f32 v78, v9, v14
	v_add_f32_e32 v77, v8, v188
	s_delay_alu instid0(VALU_DEP_3) | instskip(NEXT) | instid1(VALU_DEP_3)
	v_dual_add_f32 v79, v11, v6 :: v_dual_add_f32 v8, v94, v123
	v_dual_add_f32 v6, v185, v119 :: v_dual_add_f32 v7, v95, v122
	v_mul_f32_e32 v9, 0xbeb8f4ab, v4
	v_mul_f32_e32 v188, 0xbf06c442, v4
	s_delay_alu instid0(VALU_DEP_4) | instskip(NEXT) | instid1(VALU_DEP_4)
	v_mul_f32_e32 v26, 0xbe8c1d8e, v8
	v_dual_add_f32 v6, v6, v121 :: v_dual_mul_f32 v21, 0x3dbcf732, v8
	s_delay_alu instid0(VALU_DEP_4)
	v_dual_add_f32 v5, v5, v120 :: v_dual_fmamk_f32 v12, v7, 0x3f6eb680, v9
	v_fma_f32 v9, 0x3f6eb680, v7, -v9
	v_mul_f32_e32 v14, 0x3f3d2fb0, v8
	v_mul_f32_e32 v17, 0x3ee437d1, v8
	v_fmamk_f32 v24, v10, 0x3f7ee86f, v21
	v_dual_mul_f32 v11, 0x3f6eb680, v8 :: v_dual_add_f32 v94, v5, v122
	v_add_f32_e32 v9, v186, v9
	v_mul_f32_e32 v5, 0xbf2c7751, v4
	s_delay_alu instid0(VALU_DEP_4)
	v_dual_fmamk_f32 v19, v10, 0x3f65296c, v17 :: v_dual_add_f32 v24, v187, v24
	v_fmamk_f32 v16, v10, 0x3f2c7751, v14
	v_fmac_f32_e32 v14, 0xbf2c7751, v10
	v_mul_f32_e32 v15, 0xbf65296c, v4
	v_add_f32_e32 v95, v6, v123
	v_mul_f32_e32 v23, 0xbf763a35, v4
	s_delay_alu instid0(VALU_DEP_4) | instskip(NEXT) | instid1(VALU_DEP_4)
	v_dual_mul_f32 v123, 0xbf1a4643, v8 :: v_dual_add_f32 v14, v187, v14
	v_fmamk_f32 v18, v7, 0x3ee437d1, v15
	v_fma_f32 v15, 0x3ee437d1, v7, -v15
	v_dual_mul_f32 v189, 0xbf59a7d5, v8 :: v_dual_fmamk_f32 v190, v7, 0xbf59a7d5, v188
	v_mul_f32_e32 v8, 0xbf7ba420, v8
	s_delay_alu instid0(VALU_DEP_4) | instskip(NEXT) | instid1(VALU_DEP_4)
	v_dual_fmamk_f32 v13, v7, 0x3f3d2fb0, v5 :: v_dual_add_f32 v18, v186, v18
	v_add_f32_e32 v15, v186, v15
	v_fma_f32 v5, 0x3f3d2fb0, v7, -v5
	s_delay_alu instid0(VALU_DEP_4)
	v_fmamk_f32 v194, v10, 0x3e3c28d5, v8
	v_fmamk_f32 v185, v10, 0x3f4c4adb, v123
	;; [unrolled: 1-line block ×3, first 2 shown]
	v_fmac_f32_e32 v26, 0xbf763a35, v10
	v_dual_fmamk_f32 v25, v7, 0xbe8c1d8e, v23 :: v_dual_add_f32 v190, v186, v190
	v_fma_f32 v23, 0xbe8c1d8e, v7, -v23
	v_dual_add_f32 v5, v186, v5 :: v_dual_mul_f32 v20, 0xbf7ee86f, v4
	v_add_f32_e32 v185, v187, v185
	v_dual_mul_f32 v27, 0xbf4c4adb, v4 :: v_dual_add_f32 v122, v187, v122
	s_delay_alu instid0(VALU_DEP_4) | instskip(NEXT) | instid1(VALU_DEP_2)
	v_dual_add_f32 v23, v186, v23 :: v_dual_mul_f32 v4, 0xbe3c28d5, v4
	v_dual_add_f32 v25, v186, v25 :: v_dual_fmamk_f32 v184, v7, 0xbf1a4643, v27
	v_fma_f32 v27, 0xbf1a4643, v7, -v27
	v_fmamk_f32 v22, v7, 0x3dbcf732, v20
	s_delay_alu instid0(VALU_DEP_4)
	v_fmamk_f32 v192, v7, 0xbf7ba420, v4
	v_fma_f32 v20, 0x3dbcf732, v7, -v20
	v_fma_f32 v4, 0xbf7ba420, v7, -v4
	v_add_f32_e32 v27, v186, v27
	v_fma_f32 v188, 0xbf59a7d5, v7, -v188
	v_add_f32_e32 v7, v117, v121
	v_dual_add_f32 v117, v114, v120 :: v_dual_fmac_f32 v8, 0xbe3c28d5, v10
	v_fmamk_f32 v191, v10, 0x3f06c442, v189
	v_dual_mul_f32 v121, 0xbf2c7751, v193 :: v_dual_add_f32 v4, v186, v4
	v_fmamk_f32 v6, v10, 0x3eb8f4ab, v11
	v_dual_add_f32 v12, v186, v12 :: v_dual_fmac_f32 v11, 0xbeb8f4ab, v10
	v_dual_fmac_f32 v17, 0xbf65296c, v10 :: v_dual_add_f32 v20, v186, v20
	v_dual_fmac_f32 v21, 0xbf7ee86f, v10 :: v_dual_add_f32 v184, v186, v184
	v_add_f32_e32 v26, v187, v26
	v_dual_fmac_f32 v123, 0xbf4c4adb, v10 :: v_dual_add_f32 v188, v186, v188
	v_dual_fmac_f32 v189, 0xbf06c442, v10 :: v_dual_sub_f32 v10, v114, v120
	v_add_f32_e32 v120, v187, v194
	v_fmamk_f32 v194, v117, 0x3f3d2fb0, v121
	v_add_f32_e32 v8, v187, v8
	v_add_f32_e32 v191, v187, v191
	;; [unrolled: 1-line block ×5, first 2 shown]
	v_dual_add_f32 v13, v186, v13 :: v_dual_add_f32 v16, v187, v16
	v_dual_add_f32 v17, v187, v17 :: v_dual_add_f32 v22, v186, v22
	v_add_f32_e32 v21, v187, v21
	v_dual_add_f32 v123, v187, v123 :: v_dual_add_f32 v192, v186, v192
	v_add_f32_e32 v189, v187, v189
	v_dual_mul_f32 v187, 0xbf7ee86f, v193 :: v_dual_add_f32 v12, v194, v12
	v_fma_f32 v121, 0x3f3d2fb0, v117, -v121
	v_mul_f32_e32 v194, 0x3dbcf732, v7
	s_delay_alu instid0(VALU_DEP_2) | instskip(NEXT) | instid1(VALU_DEP_2)
	v_dual_mul_f32 v114, 0x3f3d2fb0, v7 :: v_dual_add_f32 v9, v121, v9
	v_fmamk_f32 v121, v10, 0x3f7ee86f, v194
	s_delay_alu instid0(VALU_DEP_1) | instskip(NEXT) | instid1(VALU_DEP_1)
	v_dual_mul_f32 v195, 0xbf1a4643, v7 :: v_dual_add_f32 v16, v121, v16
	v_fmamk_f32 v121, v10, 0x3f4c4adb, v195
	s_delay_alu instid0(VALU_DEP_4) | instskip(SKIP_1) | instid1(VALU_DEP_2)
	v_fmamk_f32 v186, v10, 0x3f2c7751, v114
	v_fmac_f32_e32 v195, 0xbf4c4adb, v10
	v_dual_add_f32 v19, v121, v19 :: v_dual_add_f32 v6, v186, v6
	v_fmamk_f32 v186, v117, 0x3dbcf732, v187
	s_delay_alu instid0(VALU_DEP_1) | instskip(NEXT) | instid1(VALU_DEP_1)
	v_dual_fmac_f32 v114, 0xbf2c7751, v10 :: v_dual_add_f32 v13, v186, v13
	v_dual_add_f32 v11, v114, v11 :: v_dual_mul_f32 v114, 0xbf4c4adb, v193
	v_fma_f32 v186, 0x3dbcf732, v117, -v187
	s_delay_alu instid0(VALU_DEP_2) | instskip(NEXT) | instid1(VALU_DEP_2)
	v_fmamk_f32 v187, v117, 0xbf1a4643, v114
	v_add_f32_e32 v5, v186, v5
	v_fma_f32 v114, 0xbf1a4643, v117, -v114
	v_fmac_f32_e32 v194, 0xbf7ee86f, v10
	s_delay_alu instid0(VALU_DEP_4) | instskip(NEXT) | instid1(VALU_DEP_3)
	v_dual_add_f32 v18, v187, v18 :: v_dual_mul_f32 v187, 0xbf7ba420, v7
	v_add_f32_e32 v15, v114, v15
	s_delay_alu instid0(VALU_DEP_3) | instskip(SKIP_1) | instid1(VALU_DEP_4)
	v_add_f32_e32 v14, v194, v14
	v_mul_f32_e32 v186, 0xbe3c28d5, v193
	v_dual_add_f32 v17, v195, v17 :: v_dual_fmamk_f32 v114, v10, 0x3e3c28d5, v187
	v_mul_f32_e32 v194, 0x3f06c442, v193
	v_fmac_f32_e32 v187, 0xbe3c28d5, v10
	s_delay_alu instid0(VALU_DEP_4) | instskip(NEXT) | instid1(VALU_DEP_4)
	v_fmamk_f32 v121, v117, 0xbf7ba420, v186
	v_dual_mul_f32 v195, 0xbe8c1d8e, v7 :: v_dual_add_f32 v24, v114, v24
	s_delay_alu instid0(VALU_DEP_2) | instskip(SKIP_2) | instid1(VALU_DEP_2)
	v_dual_add_f32 v21, v187, v21 :: v_dual_add_f32 v22, v121, v22
	v_fma_f32 v121, 0xbf7ba420, v117, -v186
	v_fma_f32 v187, 0xbf59a7d5, v117, -v194
	v_dual_add_f32 v20, v121, v20 :: v_dual_mul_f32 v121, 0x3f763a35, v193
	s_delay_alu instid0(VALU_DEP_2) | instskip(SKIP_2) | instid1(VALU_DEP_4)
	v_dual_add_f32 v23, v187, v23 :: v_dual_fmamk_f32 v114, v117, 0xbf59a7d5, v194
	v_mul_f32_e32 v186, 0xbf59a7d5, v7
	v_mul_f32_e32 v187, 0x3ee437d1, v7
	v_fmamk_f32 v194, v117, 0xbe8c1d8e, v121
	v_fma_f32 v121, 0xbe8c1d8e, v117, -v121
	v_add_f32_e32 v25, v114, v25
	v_fmamk_f32 v114, v10, 0xbf06c442, v186
	v_mul_f32_e32 v7, 0x3f6eb680, v7
	s_delay_alu instid0(VALU_DEP_4) | instskip(SKIP_1) | instid1(VALU_DEP_4)
	v_add_f32_e32 v27, v121, v27
	v_fmamk_f32 v121, v10, 0xbf65296c, v187
	v_add_f32_e32 v114, v114, v122
	v_fmac_f32_e32 v186, 0x3f06c442, v10
	v_add_f32_e32 v122, v194, v184
	s_delay_alu instid0(VALU_DEP_4) | instskip(SKIP_1) | instid1(VALU_DEP_4)
	v_dual_fmamk_f32 v184, v10, 0xbf763a35, v195 :: v_dual_add_f32 v121, v121, v191
	v_fmac_f32_e32 v187, 0x3f65296c, v10
	v_add_f32_e32 v26, v186, v26
	v_mul_f32_e32 v186, 0x3f65296c, v193
	s_delay_alu instid0(VALU_DEP_4) | instskip(NEXT) | instid1(VALU_DEP_4)
	v_dual_add_f32 v184, v184, v185 :: v_dual_fmac_f32 v195, 0x3f763a35, v10
	v_add_f32_e32 v187, v187, v189
	s_delay_alu instid0(VALU_DEP_3) | instskip(SKIP_3) | instid1(VALU_DEP_3)
	v_fmamk_f32 v185, v117, 0x3ee437d1, v186
	v_fma_f32 v186, 0x3ee437d1, v117, -v186
	v_mul_f32_e32 v193, 0x3eb8f4ab, v193
	v_add_f32_e32 v123, v195, v123
	v_dual_add_f32 v185, v185, v190 :: v_dual_add_f32 v186, v186, v188
	s_delay_alu instid0(VALU_DEP_3) | instskip(SKIP_3) | instid1(VALU_DEP_4)
	v_fmamk_f32 v190, v117, 0x3f6eb680, v193
	v_dual_sub_f32 v188, v111, v119 :: v_dual_add_f32 v191, v109, v118
	v_fma_f32 v117, 0x3f6eb680, v117, -v193
	v_add_f32_e32 v111, v111, v119
	v_add_f32_e32 v189, v190, v192
	s_delay_alu instid0(VALU_DEP_4) | instskip(SKIP_3) | instid1(VALU_DEP_4)
	v_mul_f32_e32 v192, 0xbf65296c, v188
	v_fmamk_f32 v190, v10, 0xbeb8f4ab, v7
	v_fmac_f32_e32 v7, 0x3eb8f4ab, v10
	v_sub_f32_e32 v10, v109, v118
	v_dual_add_f32 v4, v117, v4 :: v_dual_fmamk_f32 v109, v191, 0x3ee437d1, v192
	s_delay_alu instid0(VALU_DEP_3) | instskip(SKIP_2) | instid1(VALU_DEP_4)
	v_dual_mul_f32 v118, 0x3ee437d1, v111 :: v_dual_add_f32 v7, v7, v8
	v_add_f32_e32 v119, v190, v120
	v_fma_f32 v117, 0x3ee437d1, v191, -v192
	v_add_f32_e32 v8, v109, v12
	s_delay_alu instid0(VALU_DEP_4) | instskip(SKIP_3) | instid1(VALU_DEP_3)
	v_fmamk_f32 v12, v10, 0x3f65296c, v118
	v_fmac_f32_e32 v118, 0xbf65296c, v10
	v_mul_f32_e32 v109, 0xbf4c4adb, v188
	v_dual_mul_f32 v120, 0xbf1a4643, v111 :: v_dual_add_f32 v9, v117, v9
	v_dual_add_f32 v6, v12, v6 :: v_dual_add_f32 v11, v118, v11
	s_delay_alu instid0(VALU_DEP_3) | instskip(NEXT) | instid1(VALU_DEP_3)
	v_fmamk_f32 v12, v191, 0xbf1a4643, v109
	v_fmamk_f32 v117, v10, 0x3f4c4adb, v120
	v_mul_f32_e32 v190, 0xbe8c1d8e, v111
	s_delay_alu instid0(VALU_DEP_3) | instskip(SKIP_1) | instid1(VALU_DEP_1)
	v_add_f32_e32 v12, v12, v13
	v_fma_f32 v13, 0xbf1a4643, v191, -v109
	v_dual_mul_f32 v118, 0x3e3c28d5, v188 :: v_dual_add_f32 v5, v13, v5
	s_delay_alu instid0(VALU_DEP_1) | instskip(SKIP_2) | instid1(VALU_DEP_2)
	v_dual_add_f32 v16, v117, v16 :: v_dual_fmamk_f32 v109, v191, 0xbf7ba420, v118
	v_mul_f32_e32 v117, 0xbf7ba420, v111
	v_fma_f32 v118, 0xbf7ba420, v191, -v118
	v_dual_add_f32 v18, v109, v18 :: v_dual_fmamk_f32 v109, v10, 0xbe3c28d5, v117
	s_delay_alu instid0(VALU_DEP_2) | instskip(NEXT) | instid1(VALU_DEP_2)
	v_dual_fmac_f32 v120, 0xbf4c4adb, v10 :: v_dual_add_f32 v15, v118, v15
	v_add_f32_e32 v19, v109, v19
	s_delay_alu instid0(VALU_DEP_2) | instskip(SKIP_2) | instid1(VALU_DEP_3)
	v_dual_add_f32 v13, v120, v14 :: v_dual_mul_f32 v14, 0x3f763a35, v188
	v_fmamk_f32 v109, v10, 0xbf763a35, v190
	v_fmac_f32_e32 v117, 0x3e3c28d5, v10
	v_fmamk_f32 v120, v191, 0xbe8c1d8e, v14
	v_fma_f32 v14, 0xbe8c1d8e, v191, -v14
	s_delay_alu instid0(VALU_DEP_4) | instskip(NEXT) | instid1(VALU_DEP_4)
	v_add_f32_e32 v24, v109, v24
	v_dual_add_f32 v17, v117, v17 :: v_dual_fmac_f32 v190, 0x3f763a35, v10
	v_mul_f32_e32 v117, 0x3f2c7751, v188
	s_delay_alu instid0(VALU_DEP_4) | instskip(SKIP_1) | instid1(VALU_DEP_4)
	v_add_f32_e32 v14, v14, v20
	v_add_f32_e32 v22, v120, v22
	;; [unrolled: 1-line block ×3, first 2 shown]
	s_delay_alu instid0(VALU_DEP_4) | instskip(SKIP_1) | instid1(VALU_DEP_2)
	v_dual_mul_f32 v118, 0x3f3d2fb0, v111 :: v_dual_fmamk_f32 v109, v191, 0x3f3d2fb0, v117
	v_mul_f32_e32 v190, 0x3dbcf732, v111
	v_fmamk_f32 v21, v10, 0xbf2c7751, v118
	s_delay_alu instid0(VALU_DEP_3) | instskip(SKIP_4) | instid1(VALU_DEP_4)
	v_add_f32_e32 v25, v109, v25
	v_fma_f32 v109, 0x3f3d2fb0, v191, -v117
	v_fmac_f32_e32 v118, 0x3f2c7751, v10
	v_mul_f32_e32 v117, 0x3f6eb680, v111
	v_mul_f32_e32 v111, 0xbf59a7d5, v111
	v_dual_mul_f32 v120, 0xbeb8f4ab, v188 :: v_dual_add_f32 v23, v109, v23
	s_delay_alu instid0(VALU_DEP_4) | instskip(NEXT) | instid1(VALU_DEP_4)
	v_add_f32_e32 v26, v118, v26
	v_fmamk_f32 v118, v10, 0x3eb8f4ab, v117
	s_delay_alu instid0(VALU_DEP_1) | instskip(NEXT) | instid1(VALU_DEP_1)
	v_dual_fmac_f32 v117, 0xbeb8f4ab, v10 :: v_dual_add_f32 v118, v118, v184
	v_dual_fmamk_f32 v184, v10, 0x3f06c442, v111 :: v_dual_add_f32 v117, v117, v123
	v_mul_f32_e32 v123, 0xbf06c442, v188
	s_delay_alu instid0(VALU_DEP_2)
	v_add_f32_e32 v119, v184, v119
	v_dual_add_f32 v184, v104, v115 :: v_dual_add_f32 v21, v21, v114
	v_fmamk_f32 v114, v191, 0x3f6eb680, v120
	v_mul_f32_e32 v109, 0xbf7ee86f, v188
	v_fma_f32 v120, 0x3f6eb680, v191, -v120
	v_add_f32_e32 v188, v96, v99
	s_delay_alu instid0(VALU_DEP_4) | instskip(NEXT) | instid1(VALU_DEP_3)
	v_add_f32_e32 v114, v114, v122
	v_dual_fmamk_f32 v122, v191, 0x3dbcf732, v109 :: v_dual_add_f32 v27, v120, v27
	v_fma_f32 v109, 0x3dbcf732, v191, -v109
	s_delay_alu instid0(VALU_DEP_2) | instskip(NEXT) | instid1(VALU_DEP_2)
	v_add_f32_e32 v120, v122, v185
	v_dual_fmamk_f32 v122, v10, 0x3f7ee86f, v190 :: v_dual_add_f32 v109, v109, v186
	v_sub_f32_e32 v186, v107, v116
	v_add_f32_e32 v107, v107, v116
	s_delay_alu instid0(VALU_DEP_3) | instskip(NEXT) | instid1(VALU_DEP_3)
	v_dual_add_f32 v121, v122, v121 :: v_dual_fmamk_f32 v122, v191, 0xbf59a7d5, v123
	v_mul_f32_e32 v116, 0xbf7ee86f, v186
	v_fma_f32 v123, 0xbf59a7d5, v191, -v123
	v_fmac_f32_e32 v111, 0xbf06c442, v10
	v_fmac_f32_e32 v190, 0xbf7ee86f, v10
	v_add_f32_e32 v122, v122, v189
	v_sub_f32_e32 v10, v104, v115
	v_dual_mul_f32 v104, 0x3dbcf732, v107 :: v_dual_fmamk_f32 v115, v184, 0x3dbcf732, v116
	v_add_f32_e32 v7, v111, v7
	v_dual_mul_f32 v111, 0xbe3c28d5, v186 :: v_dual_add_f32 v4, v123, v4
	s_delay_alu instid0(VALU_DEP_3) | instskip(SKIP_3) | instid1(VALU_DEP_4)
	v_dual_fmamk_f32 v123, v10, 0x3f7ee86f, v104 :: v_dual_add_f32 v8, v115, v8
	v_fma_f32 v115, 0x3dbcf732, v184, -v116
	v_add_f32_e32 v185, v190, v187
	v_add_f32_e32 v189, v3, v97
	v_dual_add_f32 v6, v123, v6 :: v_dual_mul_f32 v123, 0xbf7ba420, v107
	s_delay_alu instid0(VALU_DEP_4) | instskip(NEXT) | instid1(VALU_DEP_2)
	v_add_f32_e32 v9, v115, v9
	v_fmamk_f32 v115, v10, 0x3e3c28d5, v123
	v_fmac_f32_e32 v123, 0xbe3c28d5, v10
	v_fmamk_f32 v116, v184, 0xbf7ba420, v111
	v_fma_f32 v111, 0xbf7ba420, v184, -v111
	s_delay_alu instid0(VALU_DEP_3) | instskip(NEXT) | instid1(VALU_DEP_3)
	v_dual_fmac_f32 v104, 0xbf7ee86f, v10 :: v_dual_add_f32 v13, v123, v13
	v_add_f32_e32 v12, v116, v12
	s_delay_alu instid0(VALU_DEP_3) | instskip(NEXT) | instid1(VALU_DEP_3)
	v_dual_mul_f32 v116, 0xbe8c1d8e, v107 :: v_dual_add_f32 v5, v111, v5
	v_add_f32_e32 v11, v104, v11
	s_delay_alu instid0(VALU_DEP_2) | instskip(NEXT) | instid1(VALU_DEP_1)
	v_fmamk_f32 v111, v10, 0xbf763a35, v116
	v_dual_mul_f32 v104, 0x3f763a35, v186 :: v_dual_add_f32 v19, v111, v19
	s_delay_alu instid0(VALU_DEP_1) | instskip(SKIP_2) | instid1(VALU_DEP_3)
	v_fmamk_f32 v187, v184, 0xbe8c1d8e, v104
	v_fma_f32 v104, 0xbe8c1d8e, v184, -v104
	v_fmac_f32_e32 v116, 0x3f763a35, v10
	v_dual_mul_f32 v111, 0x3f6eb680, v107 :: v_dual_add_f32 v18, v187, v18
	s_delay_alu instid0(VALU_DEP_3) | instskip(NEXT) | instid1(VALU_DEP_3)
	v_dual_add_f32 v16, v115, v16 :: v_dual_add_f32 v15, v104, v15
	v_dual_add_f32 v17, v116, v17 :: v_dual_mul_f32 v104, 0xbf65296c, v186
	s_delay_alu instid0(VALU_DEP_3) | instskip(NEXT) | instid1(VALU_DEP_1)
	v_fmamk_f32 v116, v10, 0xbeb8f4ab, v111
	v_dual_mul_f32 v115, 0x3eb8f4ab, v186 :: v_dual_add_f32 v24, v116, v24
	s_delay_alu instid0(VALU_DEP_1) | instskip(SKIP_2) | instid1(VALU_DEP_2)
	v_fmamk_f32 v123, v184, 0x3f6eb680, v115
	v_fma_f32 v115, 0x3f6eb680, v184, -v115
	v_mul_f32_e32 v116, 0x3ee437d1, v107
	v_add_f32_e32 v14, v115, v14
	s_delay_alu instid0(VALU_DEP_4) | instskip(NEXT) | instid1(VALU_DEP_3)
	v_dual_add_f32 v22, v123, v22 :: v_dual_fmamk_f32 v123, v184, 0x3ee437d1, v104
	v_fmamk_f32 v115, v10, 0x3f65296c, v116
	v_fma_f32 v104, 0x3ee437d1, v184, -v104
	s_delay_alu instid0(VALU_DEP_3) | instskip(SKIP_1) | instid1(VALU_DEP_3)
	v_dual_fmac_f32 v116, 0xbf65296c, v10 :: v_dual_add_f32 v25, v123, v25
	v_mul_f32_e32 v123, 0xbf59a7d5, v107
	v_add_f32_e32 v23, v104, v23
	s_delay_alu instid0(VALU_DEP_3) | instskip(SKIP_1) | instid1(VALU_DEP_4)
	v_dual_add_f32 v26, v116, v26 :: v_dual_add_f32 v21, v115, v21
	v_mul_f32_e32 v115, 0x3f4c4adb, v186
	v_fmamk_f32 v104, v10, 0x3f06c442, v123
	s_delay_alu instid0(VALU_DEP_1) | instskip(NEXT) | instid1(VALU_DEP_3)
	v_add_f32_e32 v104, v104, v118
	v_fmamk_f32 v118, v184, 0xbf1a4643, v115
	v_fmac_f32_e32 v111, 0x3eb8f4ab, v10
	v_fma_f32 v115, 0xbf1a4643, v184, -v115
	s_delay_alu instid0(VALU_DEP_3) | instskip(NEXT) | instid1(VALU_DEP_3)
	v_add_f32_e32 v118, v118, v120
	v_dual_add_f32 v20, v111, v20 :: v_dual_mul_f32 v111, 0xbf06c442, v186
	s_delay_alu instid0(VALU_DEP_3) | instskip(NEXT) | instid1(VALU_DEP_2)
	v_add_f32_e32 v109, v115, v109
	v_fmamk_f32 v187, v184, 0xbf59a7d5, v111
	v_fma_f32 v111, 0xbf59a7d5, v184, -v111
	s_delay_alu instid0(VALU_DEP_2) | instskip(SKIP_2) | instid1(VALU_DEP_4)
	v_add_f32_e32 v114, v187, v114
	v_fmac_f32_e32 v123, 0xbf06c442, v10
	v_mul_f32_e32 v116, 0xbf1a4643, v107
	v_add_f32_e32 v27, v111, v27
	v_mul_f32_e32 v107, 0x3f3d2fb0, v107
	s_delay_alu instid0(VALU_DEP_4) | instskip(SKIP_1) | instid1(VALU_DEP_1)
	v_add_f32_e32 v111, v123, v117
	v_mul_f32_e32 v117, 0x3f2c7751, v186
	v_fmamk_f32 v120, v184, 0x3f3d2fb0, v117
	v_fmamk_f32 v123, v10, 0xbf4c4adb, v116
	v_fmac_f32_e32 v116, 0x3f4c4adb, v10
	s_delay_alu instid0(VALU_DEP_1) | instskip(NEXT) | instid1(VALU_DEP_4)
	v_add_f32_e32 v115, v116, v185
	v_add_f32_e32 v116, v120, v122
	v_fmamk_f32 v122, v10, 0xbf2c7751, v107
	v_sub_f32_e32 v120, v106, v113
	v_add_f32_e32 v106, v106, v113
	v_add_f32_e32 v121, v123, v121
	;; [unrolled: 1-line block ×3, first 2 shown]
	v_dual_fmac_f32 v107, 0x3f2c7751, v10 :: v_dual_sub_f32 v10, v102, v112
	s_delay_alu instid0(VALU_DEP_4) | instskip(SKIP_3) | instid1(VALU_DEP_2)
	v_mul_f32_e32 v102, 0xbe8c1d8e, v106
	v_dual_mul_f32 v123, 0xbf763a35, v120 :: v_dual_add_f32 v112, v122, v119
	v_fma_f32 v117, 0x3f3d2fb0, v184, -v117
	v_dual_mul_f32 v122, 0xbf59a7d5, v106 :: v_dual_sub_f32 v185, v96, v99
	v_dual_add_f32 v4, v117, v4 :: v_dual_add_f32 v7, v107, v7
	v_fmamk_f32 v107, v10, 0x3f763a35, v102
	v_fmac_f32_e32 v102, 0xbf763a35, v10
	v_fmamk_f32 v119, v113, 0xbe8c1d8e, v123
	s_delay_alu instid0(VALU_DEP_3) | instskip(NEXT) | instid1(VALU_DEP_2)
	v_dual_mul_f32 v117, 0x3f06c442, v120 :: v_dual_add_f32 v6, v107, v6
	v_dual_add_f32 v11, v102, v11 :: v_dual_add_f32 v8, v119, v8
	v_fma_f32 v119, 0xbe8c1d8e, v113, -v123
	s_delay_alu instid0(VALU_DEP_1) | instskip(NEXT) | instid1(VALU_DEP_1)
	v_dual_mul_f32 v102, 0x3f2c7751, v120 :: v_dual_add_f32 v9, v119, v9
	v_fmamk_f32 v119, v113, 0x3f3d2fb0, v102
	v_fmamk_f32 v107, v113, 0xbf59a7d5, v117
	v_fma_f32 v102, 0x3f3d2fb0, v113, -v102
	s_delay_alu instid0(VALU_DEP_3) | instskip(NEXT) | instid1(VALU_DEP_3)
	v_add_f32_e32 v18, v119, v18
	v_dual_mul_f32 v119, 0x3ee437d1, v106 :: v_dual_add_f32 v12, v107, v12
	s_delay_alu instid0(VALU_DEP_3) | instskip(NEXT) | instid1(VALU_DEP_2)
	v_add_f32_e32 v15, v102, v15
	v_fmamk_f32 v102, v10, 0x3f65296c, v119
	v_mul_f32_e32 v123, 0x3f3d2fb0, v106
	v_fmac_f32_e32 v119, 0xbf65296c, v10
	v_fmamk_f32 v107, v10, 0xbf06c442, v122
	v_fmac_f32_e32 v122, 0x3f06c442, v10
	v_fma_f32 v117, 0xbf59a7d5, v113, -v117
	v_add_f32_e32 v24, v102, v24
	v_add_f32_e32 v20, v119, v20
	v_dual_add_f32 v16, v107, v16 :: v_dual_fmamk_f32 v107, v10, 0xbf2c7751, v123
	s_delay_alu instid0(VALU_DEP_4) | instskip(SKIP_2) | instid1(VALU_DEP_4)
	v_add_f32_e32 v5, v117, v5
	v_mul_f32_e32 v117, 0xbf65296c, v120
	v_fmac_f32_e32 v123, 0x3f2c7751, v10
	v_add_f32_e32 v19, v107, v19
	s_delay_alu instid0(VALU_DEP_3) | instskip(SKIP_1) | instid1(VALU_DEP_2)
	v_fmamk_f32 v107, v113, 0x3ee437d1, v117
	v_dual_add_f32 v13, v122, v13 :: v_dual_mul_f32 v122, 0xbe3c28d5, v120
	v_add_f32_e32 v22, v107, v22
	v_fma_f32 v107, 0x3ee437d1, v113, -v117
	s_delay_alu instid0(VALU_DEP_3) | instskip(SKIP_2) | instid1(VALU_DEP_4)
	v_dual_fmamk_f32 v102, v113, 0xbf7ba420, v122 :: v_dual_mul_f32 v117, 0xbf7ba420, v106
	v_add_f32_e32 v17, v123, v17
	v_fma_f32 v119, 0xbf7ba420, v113, -v122
	v_dual_add_f32 v14, v107, v14 :: v_dual_mul_f32 v107, 0x3f7ee86f, v120
	s_delay_alu instid0(VALU_DEP_4) | instskip(SKIP_2) | instid1(VALU_DEP_4)
	v_add_f32_e32 v25, v102, v25
	v_fmamk_f32 v102, v10, 0x3e3c28d5, v117
	v_fmac_f32_e32 v117, 0xbe3c28d5, v10
	v_dual_mul_f32 v123, 0x3dbcf732, v106 :: v_dual_fmamk_f32 v122, v113, 0x3dbcf732, v107
	v_add_f32_e32 v23, v119, v23
	s_delay_alu instid0(VALU_DEP_3) | instskip(NEXT) | instid1(VALU_DEP_3)
	v_dual_add_f32 v21, v102, v21 :: v_dual_add_f32 v26, v117, v26
	v_dual_mul_f32 v117, 0xbeb8f4ab, v120 :: v_dual_add_f32 v102, v122, v114
	s_delay_alu instid0(VALU_DEP_4) | instskip(SKIP_2) | instid1(VALU_DEP_3)
	v_fmamk_f32 v114, v10, 0xbf7ee86f, v123
	v_mul_f32_e32 v119, 0x3f6eb680, v106
	v_mul_f32_e32 v120, 0xbf4c4adb, v120
	v_dual_fmac_f32 v123, 0x3f7ee86f, v10 :: v_dual_add_f32 v104, v114, v104
	v_fmamk_f32 v114, v113, 0x3f6eb680, v117
	v_fma_f32 v117, 0x3f6eb680, v113, -v117
	v_mul_f32_e32 v106, 0xbf1a4643, v106
	s_delay_alu instid0(VALU_DEP_2) | instskip(SKIP_4) | instid1(VALU_DEP_4)
	v_dual_add_f32 v114, v114, v118 :: v_dual_add_f32 v109, v117, v109
	v_fma_f32 v107, 0x3dbcf732, v113, -v107
	v_dual_fmamk_f32 v118, v113, 0xbf1a4643, v120 :: v_dual_sub_f32 v117, v100, v110
	v_add_f32_e32 v100, v100, v110
	v_fma_f32 v110, 0xbf1a4643, v113, -v120
	v_add_f32_e32 v27, v107, v27
	v_fmamk_f32 v107, v10, 0x3eb8f4ab, v119
	v_add_f32_e32 v116, v118, v116
	v_fmamk_f32 v118, v10, 0x3f4c4adb, v106
	v_fmac_f32_e32 v119, 0xbeb8f4ab, v10
	s_delay_alu instid0(VALU_DEP_4) | instskip(SKIP_1) | instid1(VALU_DEP_3)
	v_dual_fmac_f32 v106, 0xbf4c4adb, v10 :: v_dual_add_f32 v107, v107, v121
	v_dual_mul_f32 v121, 0xbf4c4adb, v117 :: v_dual_sub_f32 v10, v98, v108
	v_add_f32_e32 v115, v119, v115
	v_add_f32_e32 v119, v98, v108
	s_delay_alu instid0(VALU_DEP_4) | instskip(SKIP_2) | instid1(VALU_DEP_4)
	v_dual_mul_f32 v108, 0xbf1a4643, v100 :: v_dual_add_f32 v7, v106, v7
	v_add_f32_e32 v4, v110, v4
	v_mul_f32_e32 v106, 0x3f763a35, v117
	v_fmamk_f32 v98, v119, 0xbf1a4643, v121
	v_add_f32_e32 v112, v118, v112
	v_mul_f32_e32 v118, 0xbf59a7d5, v100
	s_delay_alu instid0(VALU_DEP_3) | instskip(SKIP_3) | instid1(VALU_DEP_1)
	v_add_f32_e32 v8, v98, v8
	v_fmamk_f32 v98, v10, 0x3f4c4adb, v108
	v_fmac_f32_e32 v108, 0xbf4c4adb, v10
	v_mul_f32_e32 v113, 0xbe8c1d8e, v100
	v_dual_add_f32 v11, v108, v11 :: v_dual_fmamk_f32 v108, v10, 0xbf763a35, v113
	s_delay_alu instid0(VALU_DEP_4) | instskip(SKIP_2) | instid1(VALU_DEP_4)
	v_add_f32_e32 v6, v98, v6
	v_fma_f32 v110, 0xbf1a4643, v119, -v121
	v_fmamk_f32 v98, v119, 0xbe8c1d8e, v106
	v_dual_add_f32 v16, v108, v16 :: v_dual_add_f32 v111, v123, v111
	s_delay_alu instid0(VALU_DEP_3) | instskip(SKIP_1) | instid1(VALU_DEP_4)
	v_add_f32_e32 v9, v110, v9
	v_mul_f32_e32 v110, 0xbeb8f4ab, v117
	v_add_f32_e32 v12, v98, v12
	v_fma_f32 v98, 0xbe8c1d8e, v119, -v106
	v_mul_f32_e32 v108, 0x3f6eb680, v100
	s_delay_alu instid0(VALU_DEP_4) | instskip(SKIP_1) | instid1(VALU_DEP_4)
	v_fmamk_f32 v106, v119, 0x3f6eb680, v110
	v_fma_f32 v110, 0x3f6eb680, v119, -v110
	v_add_f32_e32 v5, v98, v5
	s_delay_alu instid0(VALU_DEP_2) | instskip(NEXT) | instid1(VALU_DEP_4)
	v_dual_mul_f32 v98, 0xbf06c442, v117 :: v_dual_add_f32 v15, v110, v15
	v_add_f32_e32 v18, v106, v18
	v_fmamk_f32 v106, v10, 0x3eb8f4ab, v108
	s_delay_alu instid0(VALU_DEP_1) | instskip(SKIP_3) | instid1(VALU_DEP_2)
	v_dual_mul_f32 v110, 0x3dbcf732, v100 :: v_dual_add_f32 v19, v106, v19
	v_fmamk_f32 v106, v10, 0x3f06c442, v118
	v_fmac_f32_e32 v113, 0x3f763a35, v10
	v_fmac_f32_e32 v108, 0xbeb8f4ab, v10
	v_dual_add_f32 v24, v106, v24 :: v_dual_add_f32 v13, v113, v13
	v_fmamk_f32 v113, v119, 0xbf59a7d5, v98
	v_fma_f32 v98, 0xbf59a7d5, v119, -v98
	s_delay_alu instid0(VALU_DEP_4) | instskip(SKIP_1) | instid1(VALU_DEP_4)
	v_add_f32_e32 v17, v108, v17
	v_mul_f32_e32 v108, 0x3f7ee86f, v117
	v_add_f32_e32 v22, v113, v22
	s_delay_alu instid0(VALU_DEP_4) | instskip(SKIP_1) | instid1(VALU_DEP_1)
	v_dual_add_f32 v14, v98, v14 :: v_dual_mul_f32 v113, 0xbf2c7751, v117
	v_fmamk_f32 v98, v10, 0xbf7ee86f, v110
	v_dual_fmac_f32 v110, 0x3f7ee86f, v10 :: v_dual_add_f32 v21, v98, v21
	s_delay_alu instid0(VALU_DEP_1) | instskip(NEXT) | instid1(VALU_DEP_4)
	v_add_f32_e32 v26, v110, v26
	v_fma_f32 v110, 0x3f3d2fb0, v119, -v113
	v_fmac_f32_e32 v118, 0xbf06c442, v10
	s_delay_alu instid0(VALU_DEP_2) | instskip(NEXT) | instid1(VALU_DEP_2)
	v_dual_fmamk_f32 v98, v119, 0x3f3d2fb0, v113 :: v_dual_add_f32 v27, v110, v27
	v_add_f32_e32 v20, v118, v20
	v_mul_f32_e32 v118, 0xbf7ba420, v100
	s_delay_alu instid0(VALU_DEP_3) | instskip(NEXT) | instid1(VALU_DEP_2)
	v_add_f32_e32 v98, v98, v102
	v_fmamk_f32 v110, v10, 0x3e3c28d5, v118
	v_fmamk_f32 v106, v119, 0x3dbcf732, v108
	s_delay_alu instid0(VALU_DEP_2) | instskip(NEXT) | instid1(VALU_DEP_2)
	v_dual_fmac_f32 v118, 0xbe3c28d5, v10 :: v_dual_add_f32 v107, v110, v107
	v_add_f32_e32 v25, v106, v25
	v_fma_f32 v106, 0x3dbcf732, v119, -v108
	v_mul_f32_e32 v108, 0x3f3d2fb0, v100
	s_delay_alu instid0(VALU_DEP_2) | instskip(SKIP_1) | instid1(VALU_DEP_3)
	v_dual_mul_f32 v100, 0x3ee437d1, v100 :: v_dual_add_f32 v23, v106, v23
	v_mul_f32_e32 v106, 0xbe3c28d5, v117
	v_fmamk_f32 v102, v10, 0x3f2c7751, v108
	v_fmac_f32_e32 v108, 0xbf2c7751, v10
	s_delay_alu instid0(VALU_DEP_2) | instskip(NEXT) | instid1(VALU_DEP_2)
	v_dual_fmamk_f32 v113, v119, 0xbf7ba420, v106 :: v_dual_add_f32 v102, v102, v104
	v_dual_add_f32 v104, v108, v111 :: v_dual_mul_f32 v111, 0x3f65296c, v117
	s_delay_alu instid0(VALU_DEP_2) | instskip(SKIP_1) | instid1(VALU_DEP_2)
	v_dual_add_f32 v108, v113, v114 :: v_dual_fmamk_f32 v113, v10, 0xbf65296c, v100
	v_fmac_f32_e32 v100, 0x3f65296c, v10
	v_dual_add_f32 v112, v113, v112 :: v_dual_add_f32 v113, v2, v103
	v_sub_f32_e32 v2, v2, v103
	v_sub_f32_e32 v114, v101, v105
	v_add_f32_e32 v101, v101, v105
	v_add_f32_e32 v7, v100, v7
	s_delay_alu instid0(VALU_DEP_3) | instskip(NEXT) | instid1(VALU_DEP_3)
	v_mul_f32_e32 v105, 0xbf06c442, v114
	v_mul_f32_e32 v10, 0xbf59a7d5, v101
	v_mul_f32_e32 v100, 0x3f65296c, v114
	v_fmamk_f32 v110, v119, 0x3ee437d1, v111
	v_fma_f32 v111, 0x3ee437d1, v119, -v111
	s_delay_alu instid0(VALU_DEP_1) | instskip(NEXT) | instid1(VALU_DEP_1)
	v_dual_fmamk_f32 v103, v113, 0xbf59a7d5, v105 :: v_dual_add_f32 v4, v111, v4
	v_dual_fmamk_f32 v111, v2, 0x3f06c442, v10 :: v_dual_add_f32 v8, v103, v8
	v_fma_f32 v103, 0xbf59a7d5, v113, -v105
	v_fmac_f32_e32 v10, 0xbf06c442, v2
	v_dual_fmamk_f32 v105, v113, 0x3ee437d1, v100 :: v_dual_add_f32 v110, v110, v116
	v_fma_f32 v100, 0x3ee437d1, v113, -v100
	s_delay_alu instid0(VALU_DEP_3) | instskip(NEXT) | instid1(VALU_DEP_3)
	v_dual_add_f32 v9, v103, v9 :: v_dual_add_f32 v10, v10, v11
	v_add_f32_e32 v11, v105, v12
	v_mul_f32_e32 v105, 0x3dbcf732, v101
	s_delay_alu instid0(VALU_DEP_1) | instskip(NEXT) | instid1(VALU_DEP_1)
	v_dual_add_f32 v5, v100, v5 :: v_dual_fmamk_f32 v100, v2, 0x3f7ee86f, v105
	v_dual_add_f32 v19, v100, v19 :: v_dual_mul_f32 v100, 0xbf1a4643, v101
	v_dual_add_f32 v6, v111, v6 :: v_dual_mul_f32 v111, 0x3ee437d1, v101
	v_fma_f32 v106, 0xbf7ba420, v119, -v106
	s_delay_alu instid0(VALU_DEP_2) | instskip(SKIP_1) | instid1(VALU_DEP_3)
	v_fmamk_f32 v103, v2, 0xbf65296c, v111
	v_mul_f32_e32 v12, 0xbf7ee86f, v114
	v_add_f32_e32 v106, v106, v109
	v_add_f32_e32 v109, v118, v115
	s_delay_alu instid0(VALU_DEP_3) | instskip(SKIP_3) | instid1(VALU_DEP_4)
	v_fmamk_f32 v115, v113, 0x3dbcf732, v12
	v_fmac_f32_e32 v111, 0x3f65296c, v2
	v_fma_f32 v12, 0x3dbcf732, v113, -v12
	v_fmac_f32_e32 v105, 0xbf7ee86f, v2
	v_add_f32_e32 v18, v115, v18
	s_delay_alu instid0(VALU_DEP_3) | instskip(NEXT) | instid1(VALU_DEP_3)
	v_dual_add_f32 v13, v111, v13 :: v_dual_add_f32 v12, v12, v15
	v_add_f32_e32 v15, v105, v17
	v_dual_mul_f32 v17, 0xbeb8f4ab, v114 :: v_dual_add_f32 v16, v103, v16
	v_mul_f32_e32 v103, 0x3f4c4adb, v114
	v_fmamk_f32 v105, v2, 0xbf4c4adb, v100
	s_delay_alu instid0(VALU_DEP_2) | instskip(SKIP_1) | instid1(VALU_DEP_3)
	v_fmamk_f32 v111, v113, 0xbf1a4643, v103
	v_fma_f32 v103, 0xbf1a4643, v113, -v103
	v_dual_add_f32 v24, v105, v24 :: v_dual_mul_f32 v105, 0x3f6eb680, v101
	s_delay_alu instid0(VALU_DEP_3) | instskip(NEXT) | instid1(VALU_DEP_2)
	v_dual_add_f32 v22, v111, v22 :: v_dual_fmamk_f32 v111, v113, 0x3f6eb680, v17
	v_dual_add_f32 v14, v103, v14 :: v_dual_fmamk_f32 v103, v2, 0x3eb8f4ab, v105
	v_fma_f32 v17, 0x3f6eb680, v113, -v17
	v_fmac_f32_e32 v105, 0xbeb8f4ab, v2
	s_delay_alu instid0(VALU_DEP_4) | instskip(SKIP_3) | instid1(VALU_DEP_3)
	v_add_f32_e32 v25, v111, v25
	v_mul_f32_e32 v111, 0xbf7ba420, v101
	v_add_f32_e32 v21, v103, v21
	v_add_f32_e32 v17, v17, v23
	v_dual_add_f32 v23, v105, v26 :: v_dual_fmamk_f32 v26, v2, 0x3e3c28d5, v111
	v_fmac_f32_e32 v111, 0xbe3c28d5, v2
	s_delay_alu instid0(VALU_DEP_2) | instskip(SKIP_1) | instid1(VALU_DEP_3)
	v_add_f32_e32 v26, v26, v102
	v_mul_f32_e32 v102, 0x3f3d2fb0, v101
	v_dual_add_f32 v118, v111, v104 :: v_dual_mul_f32 v101, 0xbe8c1d8e, v101
	s_delay_alu instid0(VALU_DEP_2) | instskip(SKIP_1) | instid1(VALU_DEP_1)
	v_fmamk_f32 v104, v2, 0xbf2c7751, v102
	v_fmac_f32_e32 v102, 0x3f2c7751, v2
	v_dual_fmac_f32 v100, 0x3f4c4adb, v2 :: v_dual_add_f32 v123, v102, v109
	s_delay_alu instid0(VALU_DEP_1) | instskip(SKIP_1) | instid1(VALU_DEP_1)
	v_add_f32_e32 v20, v100, v20
	v_mul_f32_e32 v100, 0xbe3c28d5, v114
	v_fmamk_f32 v115, v113, 0xbf7ba420, v100
	v_fma_f32 v100, 0xbf7ba420, v113, -v100
	s_delay_alu instid0(VALU_DEP_2) | instskip(NEXT) | instid1(VALU_DEP_2)
	v_add_f32_e32 v115, v115, v98
	v_dual_mul_f32 v98, 0x3f2c7751, v114 :: v_dual_add_f32 v27, v100, v27
	s_delay_alu instid0(VALU_DEP_1) | instskip(SKIP_1) | instid1(VALU_DEP_1)
	v_fmamk_f32 v103, v113, 0x3f3d2fb0, v98
	v_fma_f32 v98, 0x3f3d2fb0, v113, -v98
	v_dual_add_f32 v119, v103, v108 :: v_dual_add_f32 v122, v98, v106
	v_fmamk_f32 v98, v2, 0x3f763a35, v101
	v_dual_fmac_f32 v101, 0xbf763a35, v2 :: v_dual_sub_f32 v2, v3, v97
	v_mul_f32_e32 v3, 0xbf7ba420, v188
	v_mul_f32_e32 v96, 0xbe3c28d5, v185
	s_delay_alu instid0(VALU_DEP_3) | instskip(NEXT) | instid1(VALU_DEP_3)
	v_dual_add_f32 v190, v98, v112 :: v_dual_add_f32 v7, v101, v7
	v_fmamk_f32 v98, v2, 0x3e3c28d5, v3
	v_fmac_f32_e32 v3, 0xbe3c28d5, v2
	s_delay_alu instid0(VALU_DEP_4) | instskip(SKIP_1) | instid1(VALU_DEP_2)
	v_fmamk_f32 v97, v189, 0xbf7ba420, v96
	v_mul_f32_e32 v99, 0x3eb8f4ab, v185
	v_dual_add_f32 v187, v98, v6 :: v_dual_add_f32 v186, v97, v8
	v_fma_f32 v8, 0xbf7ba420, v189, -v96
	v_add_f32_e32 v97, v3, v10
	v_dual_add_f32 v121, v104, v107 :: v_dual_mul_f32 v10, 0xbf59a7d5, v188
	v_mul_f32_e32 v3, 0xbf06c442, v185
	s_delay_alu instid0(VALU_DEP_4) | instskip(SKIP_1) | instid1(VALU_DEP_3)
	v_add_f32_e32 v96, v8, v9
	v_fma_f32 v8, 0x3f6eb680, v189, -v99
	v_fmamk_f32 v9, v189, 0xbf59a7d5, v3
	v_fma_f32 v3, 0xbf59a7d5, v189, -v3
	s_delay_alu instid0(VALU_DEP_3) | instskip(SKIP_3) | instid1(VALU_DEP_4)
	v_dual_add_f32 v98, v8, v5 :: v_dual_fmamk_f32 v5, v2, 0x3f06c442, v10
	v_mul_f32_e32 v100, 0xbf763a35, v114
	v_fmac_f32_e32 v10, 0xbf06c442, v2
	v_fmamk_f32 v6, v189, 0x3f6eb680, v99
	v_dual_mul_f32 v8, 0x3f3d2fb0, v188 :: v_dual_add_f32 v107, v5, v19
	s_delay_alu instid0(VALU_DEP_4)
	v_fmamk_f32 v103, v113, 0xbe8c1d8e, v100
	v_fma_f32 v100, 0xbe8c1d8e, v113, -v100
	v_add_f32_e32 v101, v10, v15
	v_add_f32_e32 v102, v6, v11
	v_dual_add_f32 v106, v9, v18 :: v_dual_mul_f32 v9, 0xbf4c4adb, v185
	v_add_f32_e32 v184, v103, v110
	v_add_f32_e32 v4, v100, v4
	v_mul_f32_e32 v100, 0x3f6eb680, v188
	v_mul_f32_e32 v10, 0x3ee437d1, v188
	s_delay_alu instid0(VALU_DEP_2) | instskip(NEXT) | instid1(VALU_DEP_1)
	v_fmamk_f32 v6, v2, 0xbeb8f4ab, v100
	v_dual_fmac_f32 v100, 0x3eb8f4ab, v2 :: v_dual_add_f32 v103, v6, v16
	v_mul_f32_e32 v6, 0x3f2c7751, v185
	s_delay_alu instid0(VALU_DEP_2) | instskip(SKIP_2) | instid1(VALU_DEP_4)
	v_dual_add_f32 v99, v100, v13 :: v_dual_add_f32 v100, v3, v12
	v_fmamk_f32 v3, v2, 0xbf2c7751, v8
	v_fmac_f32_e32 v8, 0x3f2c7751, v2
	v_fmamk_f32 v5, v189, 0x3f3d2fb0, v6
	s_delay_alu instid0(VALU_DEP_3) | instskip(SKIP_1) | instid1(VALU_DEP_3)
	v_add_f32_e32 v111, v3, v24
	v_fmamk_f32 v3, v189, 0xbf1a4643, v9
	v_add_f32_e32 v110, v5, v22
	v_fma_f32 v5, 0x3f3d2fb0, v189, -v6
	v_mul_f32_e32 v6, 0xbf1a4643, v188
	v_add_f32_e32 v105, v8, v20
	v_fma_f32 v8, 0xbf1a4643, v189, -v9
	s_delay_alu instid0(VALU_DEP_4) | instskip(NEXT) | instid1(VALU_DEP_4)
	v_dual_add_f32 v104, v5, v14 :: v_dual_mul_f32 v5, 0x3f65296c, v185
	v_dual_add_f32 v112, v3, v25 :: v_dual_fmamk_f32 v3, v2, 0x3f4c4adb, v6
	v_fmac_f32_e32 v6, 0xbf4c4adb, v2
	s_delay_alu instid0(VALU_DEP_3) | instskip(SKIP_1) | instid1(VALU_DEP_4)
	v_dual_add_f32 v108, v8, v17 :: v_dual_fmamk_f32 v9, v189, 0x3ee437d1, v5
	v_fma_f32 v5, 0x3ee437d1, v189, -v5
	v_add_f32_e32 v113, v3, v21
	v_fmamk_f32 v3, v2, 0xbf65296c, v10
	v_dual_add_f32 v109, v6, v23 :: v_dual_mul_f32 v6, 0xbf763a35, v185
	v_mul_f32_e32 v8, 0xbe8c1d8e, v188
	v_fmac_f32_e32 v10, 0x3f65296c, v2
	s_delay_alu instid0(VALU_DEP_4) | instskip(NEXT) | instid1(VALU_DEP_4)
	v_dual_add_f32 v117, v3, v26 :: v_dual_add_f32 v114, v5, v27
	v_fmamk_f32 v3, v189, 0xbe8c1d8e, v6
	s_delay_alu instid0(VALU_DEP_4) | instskip(SKIP_1) | instid1(VALU_DEP_3)
	v_dual_add_f32 v116, v9, v115 :: v_dual_fmamk_f32 v5, v2, 0x3f763a35, v8
	v_fma_f32 v6, 0xbe8c1d8e, v189, -v6
	v_dual_mul_f32 v9, 0x3dbcf732, v188 :: v_dual_add_f32 v120, v3, v119
	v_mul_f32_e32 v3, 0x3f7ee86f, v185
	v_add_f32_e32 v115, v10, v118
	s_delay_alu instid0(VALU_DEP_4) | instskip(SKIP_1) | instid1(VALU_DEP_4)
	v_dual_add_f32 v121, v5, v121 :: v_dual_add_f32 v118, v6, v122
	v_fmac_f32_e32 v8, 0xbf763a35, v2
	v_fmamk_f32 v5, v189, 0x3dbcf732, v3
	v_fmamk_f32 v6, v2, 0xbf7ee86f, v9
	v_fma_f32 v3, 0x3dbcf732, v189, -v3
	v_fmac_f32_e32 v9, 0x3f7ee86f, v2
	s_delay_alu instid0(VALU_DEP_4) | instskip(NEXT) | instid1(VALU_DEP_3)
	v_dual_add_f32 v119, v8, v123 :: v_dual_add_f32 v122, v5, v184
	v_dual_add_f32 v123, v6, v190 :: v_dual_add_f32 v184, v3, v4
	s_delay_alu instid0(VALU_DEP_3)
	v_add_f32_e32 v185, v9, v7
	ds_store_2addr_b64 v0, v[68:69], v[92:93] offset1:7
	ds_store_2addr_b64 v0, v[88:89], v[90:91] offset0:14 offset1:21
	ds_store_2addr_b64 v0, v[84:85], v[86:87] offset0:28 offset1:35
	;; [unrolled: 1-line block ×7, first 2 shown]
	ds_store_b64 v0, v[60:61] offset:896
	ds_store_2addr_b64 v1, v[94:95], v[186:187] offset1:7
	ds_store_2addr_b64 v1, v[102:103], v[106:107] offset0:14 offset1:21
	ds_store_2addr_b64 v1, v[110:111], v[112:113] offset0:28 offset1:35
	;; [unrolled: 1-line block ×7, first 2 shown]
	ds_store_b64 v1, v[96:97] offset:896
	s_and_saveexec_b32 s0, vcc_lo
	s_cbranch_execz .LBB0_9
; %bb.8:
	scratch_load_b128 v[1:4], off, off offset:600 ; 16-byte Folded Reload
	s_waitcnt vmcnt(0)
	v_mul_f32_e32 v0, v2, v32
	v_mul_f32_e32 v62, v2, v33
	;; [unrolled: 1-line block ×3, first 2 shown]
	s_delay_alu instid0(VALU_DEP_3) | instskip(SKIP_1) | instid1(VALU_DEP_4)
	v_fma_f32 v63, v1, v33, -v0
	v_mul_f32_e32 v0, v4, v34
	v_fmac_f32_e32 v62, v1, v32
	s_delay_alu instid0(VALU_DEP_4) | instskip(NEXT) | instid1(VALU_DEP_3)
	v_fmac_f32_e32 v64, v3, v34
	v_fma_f32 v65, v3, v35, -v0
	scratch_load_b128 v[1:4], off, off offset:584 ; 16-byte Folded Reload
	s_waitcnt vmcnt(0)
	v_mul_f32_e32 v0, v4, v38
	s_delay_alu instid0(VALU_DEP_1) | instskip(SKIP_1) | instid1(VALU_DEP_2)
	v_fma_f32 v60, v3, v39, -v0
	v_dual_mul_f32 v39, v4, v39 :: v_dual_mul_f32 v0, v2, v36
	v_add_f32_e32 v15, v60, v63
	s_delay_alu instid0(VALU_DEP_2) | instskip(NEXT) | instid1(VALU_DEP_3)
	v_dual_fmac_f32 v39, v3, v38 :: v_dual_mul_f32 v38, v2, v37
	v_fma_f32 v61, v1, v37, -v0
	s_delay_alu instid0(VALU_DEP_3) | instskip(SKIP_1) | instid1(VALU_DEP_4)
	v_dual_sub_f32 v217, v63, v60 :: v_dual_mul_f32 v82, 0xbf59a7d5, v15
	v_dual_mul_f32 v234, 0x3f3d2fb0, v15 :: v_dual_add_f32 v63, v63, v253
	v_fmac_f32_e32 v38, v1, v36
	scratch_load_b128 v[1:4], off, off offset:568 ; 16-byte Folded Reload
	v_mul_f32_e32 v71, 0xbe3c28d5, v217
	v_mul_f32_e32 v92, 0xbf06c442, v217
	;; [unrolled: 1-line block ×5, first 2 shown]
	v_sub_f32_e32 v219, v65, v61
	v_mul_f32_e32 v115, 0xbe8c1d8e, v15
	v_mul_f32_e32 v249, 0xbeb8f4ab, v217
	;; [unrolled: 1-line block ×7, first 2 shown]
	s_waitcnt vmcnt(0)
	v_dual_add_f32 v63, v65, v63 :: v_dual_mul_f32 v0, v2, v40
	v_mul_f32_e32 v21, v2, v41
	v_add_f32_e32 v37, v39, v62
	s_delay_alu instid0(VALU_DEP_3) | instskip(SKIP_3) | instid1(VALU_DEP_4)
	v_fma_f32 v66, v1, v41, -v0
	v_mul_f32_e32 v0, v4, v42
	v_mul_f32_e32 v41, v4, v43
	v_fmac_f32_e32 v21, v1, v40
	v_add_f32_e32 v63, v66, v63
	s_delay_alu instid0(VALU_DEP_4) | instskip(NEXT) | instid1(VALU_DEP_4)
	v_fma_f32 v40, v3, v43, -v0
	v_fmac_f32_e32 v41, v3, v42
	scratch_load_b128 v[1:4], off, off offset:552 ; 16-byte Folded Reload
	s_waitcnt vmcnt(0)
	v_mul_f32_e32 v0, v4, v46
	v_mul_f32_e32 v19, v4, v47
	;; [unrolled: 1-line block ×3, first 2 shown]
	s_delay_alu instid0(VALU_DEP_3) | instskip(NEXT) | instid1(VALU_DEP_3)
	v_fma_f32 v20, v3, v47, -v0
	v_dual_add_f32 v190, v61, v65 :: v_dual_fmac_f32 v19, v3, v46
	s_delay_alu instid0(VALU_DEP_3) | instskip(NEXT) | instid1(VALU_DEP_3)
	v_fmac_f32_e32 v17, v1, v44
	v_sub_f32_e32 v195, v66, v20
	v_mul_f32_e32 v0, v2, v44
	s_delay_alu instid0(VALU_DEP_4) | instskip(NEXT) | instid1(VALU_DEP_4)
	v_dual_add_f32 v194, v20, v66 :: v_dual_sub_f32 v27, v21, v19
	v_sub_f32_e32 v26, v41, v17
	v_dual_add_f32 v30, v19, v21 :: v_dual_mul_f32 v83, 0x3ee437d1, v190
	s_delay_alu instid0(VALU_DEP_4)
	v_fma_f32 v18, v1, v45, -v0
	scratch_load_b128 v[1:4], off, off offset:536 ; 16-byte Folded Reload
	v_mul_f32_e32 v69, 0xbf06c442, v195
	v_mul_f32_e32 v84, 0xbf7ee86f, v195
	;; [unrolled: 1-line block ×3, first 2 shown]
	v_add_f32_e32 v199, v18, v40
	v_mul_f32_e32 v117, 0x3f3d2fb0, v194
	v_mul_f32_e32 v213, 0xbe8c1d8e, v194
	;; [unrolled: 1-line block ×18, first 2 shown]
	s_waitcnt vmcnt(0)
	v_mul_f32_e32 v0, v2, v48
	v_mul_f32_e32 v42, v2, v49
	;; [unrolled: 1-line block ×3, first 2 shown]
	s_delay_alu instid0(VALU_DEP_3) | instskip(SKIP_1) | instid1(VALU_DEP_4)
	v_fma_f32 v16, v1, v49, -v0
	v_mul_f32_e32 v0, v4, v50
	v_fmac_f32_e32 v42, v1, v48
	s_delay_alu instid0(VALU_DEP_4) | instskip(NEXT) | instid1(VALU_DEP_3)
	v_fmac_f32_e32 v44, v3, v50
	v_fma_f32 v43, v3, v51, -v0
	scratch_load_b128 v[1:4], off, off offset:520 ; 16-byte Folded Reload
	s_waitcnt vmcnt(0)
	v_mul_f32_e32 v0, v4, v54
	v_mul_f32_e32 v48, v2, v53
	s_delay_alu instid0(VALU_DEP_2) | instskip(SKIP_2) | instid1(VALU_DEP_4)
	v_fma_f32 v45, v3, v55, -v0
	v_mul_f32_e32 v46, v4, v55
	v_mul_f32_e32 v0, v2, v52
	v_dual_fmac_f32 v48, v1, v52 :: v_dual_mul_f32 v55, 0x3f6eb680, v190
	s_delay_alu instid0(VALU_DEP_4) | instskip(SKIP_1) | instid1(VALU_DEP_4)
	v_add_f32_e32 v205, v45, v16
	v_sub_f32_e32 v191, v16, v45
	v_fma_f32 v47, v1, v53, -v0
	s_delay_alu instid0(VALU_DEP_3)
	v_dual_mul_f32 v86, 0x3dbcf732, v194 :: v_dual_mul_f32 v99, 0x3dbcf732, v205
	v_dual_mul_f32 v53, 0xbf1a4643, v205 :: v_dual_fmac_f32 v46, v3, v54
	scratch_load_b128 v[1:4], off, off offset:504 ; 16-byte Folded Reload
	v_mul_f32_e32 v89, 0x3f6eb680, v205
	v_dual_add_f32 v209, v47, v43 :: v_dual_add_f32 v28, v17, v41
	v_mul_f32_e32 v95, 0xbeb8f4ab, v191
	v_mul_f32_e32 v113, 0xbf7ba420, v205
	;; [unrolled: 1-line block ×3, first 2 shown]
	s_delay_alu instid0(VALU_DEP_4)
	v_mul_f32_e32 v52, 0x3ee437d1, v209
	v_mul_f32_e32 v109, 0x3dbcf732, v209
	;; [unrolled: 1-line block ×9, first 2 shown]
	s_waitcnt vmcnt(0)
	v_mul_f32_e32 v0, v2, v56
	v_mul_f32_e32 v68, v4, v59
	;; [unrolled: 1-line block ×3, first 2 shown]
	s_delay_alu instid0(VALU_DEP_3) | instskip(SKIP_1) | instid1(VALU_DEP_4)
	v_fma_f32 v49, v1, v57, -v0
	v_mul_f32_e32 v0, v4, v58
	v_fmac_f32_e32 v68, v3, v58
	v_mul_f32_e32 v58, 0x3f3d2fb0, v199
	v_mul_f32_e32 v199, 0x3dbcf732, v199
	s_delay_alu instid0(VALU_DEP_4) | instskip(SKIP_4) | instid1(VALU_DEP_2)
	v_fma_f32 v57, v3, v59, -v0
	scratch_load_b128 v[2:5], off, off offset:488 ; 16-byte Folded Reload
	v_mul_f32_e32 v59, 0xbf4c4adb, v191
	v_sub_f32_e32 v224, v43, v47
	v_mul_f32_e32 v108, 0xbeb8f4ab, v195
	v_mul_f32_e32 v78, 0x3f65296c, v224
	s_waitcnt vmcnt(0)
	v_dual_mul_f32 v0, v5, v126 :: v_dual_mul_f32 v73, v3, v125
	v_dual_mul_f32 v70, v5, v127 :: v_dual_add_f32 v31, v38, v64
	v_sub_f32_e32 v25, v64, v38
	s_delay_alu instid0(VALU_DEP_3) | instskip(NEXT) | instid1(VALU_DEP_3)
	v_fma_f32 v72, v4, v127, -v0
	v_dual_fmac_f32 v73, v2, v124 :: v_dual_fmac_f32 v70, v4, v126
	v_mul_f32_e32 v74, 0x3eb8f4ab, v219
	v_sub_f32_e32 v200, v40, v18
	s_delay_alu instid0(VALU_DEP_4) | instskip(SKIP_2) | instid1(VALU_DEP_3)
	v_add_f32_e32 v14, v72, v49
	v_dual_sub_f32 v24, v42, v46 :: v_dual_sub_f32 v235, v49, v72
	v_mul_f32_e32 v80, 0xbf7ba420, v209
	v_dual_fmamk_f32 v6, v31, 0xbe8c1d8e, v106 :: v_dual_mul_f32 v51, 0xbe8c1d8e, v14
	v_sub_f32_e32 v23, v44, v48
	v_fmac_f32_e32 v50, v1, v56
	v_mul_f32_e32 v1, v3, v124
	v_dual_fmamk_f32 v3, v25, 0xbf65296c, v83 :: v_dual_sub_f32 v36, v62, v39
	v_mul_f32_e32 v67, 0x3f2c7751, v200
	v_mul_f32_e32 v56, 0xbf59a7d5, v194
	s_delay_alu instid0(VALU_DEP_4) | instskip(SKIP_3) | instid1(VALU_DEP_4)
	v_fma_f32 v77, v2, v125, -v1
	v_fmamk_f32 v2, v31, 0x3f6eb680, v74
	v_mul_f32_e32 v54, 0xbf7ba420, v15
	v_dual_fmamk_f32 v1, v25, 0xbeb8f4ab, v55 :: v_dual_sub_f32 v22, v50, v70
	v_add_f32_e32 v225, v77, v57
	v_mul_f32_e32 v75, 0xbf763a35, v235
	s_delay_alu instid0(VALU_DEP_4) | instskip(SKIP_4) | instid1(VALU_DEP_4)
	v_fmamk_f32 v0, v36, 0x3e3c28d5, v54
	v_sub_f32_e32 v230, v57, v77
	v_add_f32_e32 v32, v48, v44
	v_mul_f32_e32 v76, 0x3dbcf732, v225
	v_fmamk_f32 v4, v31, 0x3ee437d1, v93
	v_dual_add_f32 v0, v253, v0 :: v_dual_mul_f32 v79, 0x3f7ee86f, v230
	v_mul_f32_e32 v90, 0xbe8c1d8e, v225
	v_mul_f32_e32 v126, 0x3f06c442, v219
	;; [unrolled: 1-line block ×3, first 2 shown]
	s_delay_alu instid0(VALU_DEP_4) | instskip(SKIP_1) | instid1(VALU_DEP_4)
	v_dual_add_f32 v0, v1, v0 :: v_dual_fmamk_f32 v1, v27, 0x3f06c442, v56
	v_mul_f32_e32 v88, 0x3f2c7751, v235
	v_fmamk_f32 v8, v31, 0xbf59a7d5, v126
	v_mul_f32_e32 v100, 0xbe8c1d8e, v190
	v_dual_mul_f32 v98, 0xbf1a4643, v15 :: v_dual_mul_f32 v121, 0xbf1a4643, v225
	v_dual_add_f32 v0, v1, v0 :: v_dual_fmamk_f32 v1, v26, 0xbf2c7751, v58
	s_delay_alu instid0(VALU_DEP_3) | instskip(SKIP_2) | instid1(VALU_DEP_4)
	v_dual_fmamk_f32 v5, v25, 0xbf763a35, v100 :: v_dual_mul_f32 v124, 0xbf763a35, v217
	v_mul_f32_e32 v103, 0xbe3c28d5, v235
	v_mul_f32_e32 v104, 0x3ee437d1, v225
	v_dual_add_f32 v0, v1, v0 :: v_dual_fmamk_f32 v1, v24, 0x3f4c4adb, v53
	v_dual_add_f32 v29, v46, v42 :: v_dual_mul_f32 v112, 0xbf06c442, v200
	v_fmamk_f32 v7, v25, 0xbf06c442, v116
	v_mul_f32_e32 v222, 0xbe3c28d5, v219
	s_delay_alu instid0(VALU_DEP_4) | instskip(SKIP_2) | instid1(VALU_DEP_4)
	v_dual_add_f32 v0, v1, v0 :: v_dual_fmamk_f32 v1, v23, 0xbf65296c, v52
	v_mul_f32_e32 v185, 0xbf65296c, v200
	v_mul_f32_e32 v127, 0xbe3c28d5, v191
	v_fmamk_f32 v10, v31, 0xbf7ba420, v222
	v_fmamk_f32 v9, v25, 0x3e3c28d5, v210
	v_dual_add_f32 v0, v1, v0 :: v_dual_fmamk_f32 v1, v22, 0x3f763a35, v51
	v_dual_add_f32 v33, v70, v50 :: v_dual_mul_f32 v220, 0xbf7ee86f, v217
	v_mul_f32_e32 v243, 0xbf7ee86f, v235
	v_mul_f32_e32 v223, 0x3eb8f4ab, v200
	s_delay_alu instid0(VALU_DEP_4) | instskip(SKIP_2) | instid1(VALU_DEP_2)
	v_add_f32_e32 v0, v1, v0
	v_dual_fmamk_f32 v1, v37, 0xbf7ba420, v71 :: v_dual_sub_f32 v34, v68, v73
	v_dual_add_f32 v35, v73, v68 :: v_dual_fmamk_f32 v12, v31, 0xbf1a4643, v221
	v_dual_mul_f32 v120, 0xbeb8f4ab, v235 :: v_dual_add_f32 v1, v252, v1
	v_mul_f32_e32 v215, 0x3f4c4adb, v235
	v_mul_f32_e32 v236, 0xbf7ee86f, v219
	;; [unrolled: 1-line block ×4, first 2 shown]
	v_add_f32_e32 v1, v2, v1
	v_fmamk_f32 v2, v30, 0xbf59a7d5, v69
	v_fmamk_f32 v125, v31, 0x3dbcf732, v236
	v_mul_f32_e32 v239, 0xbf59a7d5, v225
	v_fmamk_f32 v15, v36, 0x3eb8f4ab, v248
	v_fmamk_f32 v11, v25, 0x3f4c4adb, v203
	v_dual_add_f32 v1, v2, v1 :: v_dual_fmamk_f32 v2, v28, 0x3f3d2fb0, v67
	v_fmamk_f32 v190, v25, 0x3f2c7751, v247
	s_delay_alu instid0(VALU_DEP_4) | instskip(SKIP_1) | instid1(VALU_DEP_4)
	v_add_f32_e32 v15, v253, v15
	v_fmamk_f32 v13, v25, 0x3f7ee86f, v227
	v_dual_mul_f32 v238, 0x3f763a35, v200 :: v_dual_add_f32 v1, v2, v1
	s_delay_alu instid0(VALU_DEP_3) | instskip(SKIP_2) | instid1(VALU_DEP_3)
	v_dual_fmamk_f32 v2, v29, 0xbf1a4643, v59 :: v_dual_add_f32 v15, v190, v15
	v_add_f32_e32 v62, v252, v62
	v_fmac_f32_e32 v54, 0xbe3c28d5, v36
	v_dual_fmac_f32 v56, 0xbf06c442, v27 :: v_dual_add_f32 v1, v2, v1
	v_fmamk_f32 v2, v32, 0x3ee437d1, v78
	s_delay_alu instid0(VALU_DEP_4) | instskip(SKIP_2) | instid1(VALU_DEP_4)
	v_dual_add_f32 v62, v64, v62 :: v_dual_fmac_f32 v247, 0xbf2c7751, v25
	v_fmac_f32_e32 v55, 0x3eb8f4ab, v25
	v_fmac_f32_e32 v51, 0xbf763a35, v22
	v_dual_add_f32 v1, v2, v1 :: v_dual_fmamk_f32 v2, v33, 0xbe8c1d8e, v75
	s_delay_alu instid0(VALU_DEP_4)
	v_add_f32_e32 v21, v21, v62
	v_fmac_f32_e32 v53, 0xbf4c4adb, v24
	v_fmac_f32_e32 v83, 0x3f65296c, v25
	;; [unrolled: 1-line block ×3, first 2 shown]
	v_add_f32_e32 v2, v2, v1
	v_fmamk_f32 v1, v34, 0xbf7ee86f, v76
	v_mul_f32_e32 v97, 0xbf7ba420, v14
	v_mul_f32_e32 v81, 0x3f3d2fb0, v14
	v_dual_mul_f32 v216, 0x3ee437d1, v205 :: v_dual_mul_f32 v237, 0x3ee437d1, v14
	s_delay_alu instid0(VALU_DEP_4)
	v_dual_add_f32 v1, v1, v0 :: v_dual_fmamk_f32 v0, v35, 0x3dbcf732, v79
	v_mul_f32_e32 v110, 0x3f6eb680, v14
	v_mul_f32_e32 v198, 0x3dbcf732, v14
	;; [unrolled: 1-line block ×4, first 2 shown]
	v_add_f32_e32 v0, v0, v2
	v_dual_fmamk_f32 v2, v36, 0x3f06c442, v82 :: v_dual_add_f32 v21, v41, v21
	v_fmac_f32_e32 v52, 0x3f65296c, v23
	s_delay_alu instid0(VALU_DEP_2) | instskip(NEXT) | instid1(VALU_DEP_3)
	v_dual_fmac_f32 v227, 0xbf7ee86f, v25 :: v_dual_add_f32 v2, v253, v2
	v_dual_add_f32 v21, v42, v21 :: v_dual_fmac_f32 v248, 0xbeb8f4ab, v36
	s_delay_alu instid0(VALU_DEP_2) | instskip(SKIP_1) | instid1(VALU_DEP_3)
	v_add_f32_e32 v2, v3, v2
	v_fmamk_f32 v3, v27, 0x3f7ee86f, v86
	v_dual_add_f32 v21, v44, v21 :: v_dual_fmac_f32 v86, 0xbf7ee86f, v27
	s_delay_alu instid0(VALU_DEP_2)
	v_dual_add_f32 v2, v3, v2 :: v_dual_fmamk_f32 v3, v26, 0xbf4c4adb, v87
	v_mul_f32_e32 v85, 0xbe3c28d5, v224
	v_mul_f32_e32 v114, 0xbf2c7751, v224
	v_mul_f32_e32 v186, 0x3f7ee86f, v224
	v_mul_f32_e32 v212, 0xbf06c442, v224
	v_dual_add_f32 v2, v3, v2 :: v_dual_fmamk_f32 v3, v24, 0x3eb8f4ab, v89
	v_dual_mul_f32 v242, 0xbeb8f4ab, v224 :: v_dual_add_f32 v21, v50, v21
	v_fmac_f32_e32 v87, 0x3f4c4adb, v26
	s_delay_alu instid0(VALU_DEP_3) | instskip(SKIP_1) | instid1(VALU_DEP_4)
	v_dual_fmac_f32 v89, 0xbeb8f4ab, v24 :: v_dual_add_f32 v2, v3, v2
	v_fmamk_f32 v3, v23, 0x3e3c28d5, v80
	v_dual_add_f32 v21, v68, v21 :: v_dual_fmac_f32 v80, 0xbe3c28d5, v23
	s_delay_alu instid0(VALU_DEP_2) | instskip(NEXT) | instid1(VALU_DEP_2)
	v_dual_add_f32 v2, v3, v2 :: v_dual_fmamk_f32 v3, v37, 0xbf59a7d5, v92
	v_dual_add_f32 v21, v73, v21 :: v_dual_add_f32 v40, v40, v63
	s_delay_alu instid0(VALU_DEP_2) | instskip(NEXT) | instid1(VALU_DEP_2)
	v_add_f32_e32 v3, v252, v3
	v_add_f32_e32 v21, v70, v21
	s_delay_alu instid0(VALU_DEP_2) | instskip(NEXT) | instid1(VALU_DEP_2)
	v_dual_add_f32 v3, v4, v3 :: v_dual_fmamk_f32 v4, v22, 0xbf2c7751, v81
	v_add_f32_e32 v21, v48, v21
	v_dual_add_f32 v16, v16, v40 :: v_dual_fmac_f32 v81, 0x3f2c7751, v22
	s_delay_alu instid0(VALU_DEP_3) | instskip(SKIP_1) | instid1(VALU_DEP_3)
	v_add_f32_e32 v2, v4, v2
	v_fmamk_f32 v4, v30, 0x3dbcf732, v84
	v_dual_add_f32 v21, v46, v21 :: v_dual_add_f32 v16, v43, v16
	s_delay_alu instid0(VALU_DEP_2) | instskip(NEXT) | instid1(VALU_DEP_2)
	v_add_f32_e32 v3, v4, v3
	v_dual_add_f32 v17, v17, v21 :: v_dual_fmamk_f32 v4, v28, 0xbf1a4643, v94
	s_delay_alu instid0(VALU_DEP_3) | instskip(SKIP_2) | instid1(VALU_DEP_4)
	v_add_f32_e32 v16, v49, v16
	v_fmac_f32_e32 v76, 0x3f7ee86f, v34
	v_fma_f32 v21, 0x3dbcf732, v35, -v79
	v_add_f32_e32 v17, v19, v17
	v_dual_add_f32 v3, v4, v3 :: v_dual_fmamk_f32 v4, v29, 0x3f6eb680, v95
	v_mul_f32_e32 v91, 0xbf763a35, v230
	v_mul_f32_e32 v107, 0x3f65296c, v230
	v_mul_f32_e32 v123, 0xbf4c4adb, v230
	s_delay_alu instid0(VALU_DEP_4) | instskip(SKIP_4) | instid1(VALU_DEP_4)
	v_dual_mul_f32 v184, 0x3f2c7751, v230 :: v_dual_add_f32 v3, v4, v3
	v_fmamk_f32 v4, v32, 0xbf7ba420, v85
	v_mul_f32_e32 v244, 0xbf06c442, v230
	v_dual_add_f32 v16, v57, v16 :: v_dual_mul_f32 v241, 0x3eb8f4ab, v230
	v_fma_f32 v19, 0xbf7ba420, v37, -v71
	v_dual_add_f32 v3, v4, v3 :: v_dual_fmamk_f32 v4, v33, 0x3f3d2fb0, v88
	s_delay_alu instid0(VALU_DEP_3) | instskip(SKIP_1) | instid1(VALU_DEP_4)
	v_add_f32_e32 v16, v77, v16
	v_fma_f32 v41, 0x3ee437d1, v35, -v107
	v_add_f32_e32 v19, v252, v19
	v_fma_f32 v43, 0xbf1a4643, v35, -v123
	v_dual_add_f32 v4, v4, v3 :: v_dual_fmamk_f32 v3, v34, 0x3f763a35, v90
	s_delay_alu instid0(VALU_DEP_1) | instskip(SKIP_1) | instid1(VALU_DEP_2)
	v_dual_add_f32 v16, v72, v16 :: v_dual_add_f32 v3, v3, v2
	v_fmamk_f32 v2, v35, 0xbe8c1d8e, v91
	v_add_f32_e32 v16, v47, v16
	v_fmac_f32_e32 v82, 0xbf06c442, v36
	s_delay_alu instid0(VALU_DEP_3) | instskip(SKIP_1) | instid1(VALU_DEP_4)
	v_add_f32_e32 v2, v2, v4
	v_fmamk_f32 v4, v36, 0x3f4c4adb, v98
	v_add_f32_e32 v16, v45, v16
	v_fmac_f32_e32 v98, 0xbf4c4adb, v36
	s_delay_alu instid0(VALU_DEP_3) | instskip(NEXT) | instid1(VALU_DEP_3)
	v_add_f32_e32 v4, v253, v4
	v_add_f32_e32 v16, v18, v16
	;; [unrolled: 1-line block ×3, first 2 shown]
	v_fma_f32 v38, 0x3ee437d1, v31, -v93
	s_delay_alu instid0(VALU_DEP_4) | instskip(NEXT) | instid1(VALU_DEP_4)
	v_dual_add_f32 v4, v5, v4 :: v_dual_fmamk_f32 v5, v27, 0x3eb8f4ab, v101
	v_add_f32_e32 v16, v20, v16
	v_fma_f32 v20, 0x3f6eb680, v31, -v74
	s_delay_alu instid0(VALU_DEP_3) | instskip(NEXT) | instid1(VALU_DEP_2)
	v_dual_add_f32 v4, v5, v4 :: v_dual_fmamk_f32 v5, v26, 0x3f06c442, v102
	v_dual_add_f32 v16, v61, v16 :: v_dual_add_f32 v19, v20, v19
	v_fma_f32 v20, 0xbf59a7d5, v30, -v69
	s_delay_alu instid0(VALU_DEP_3) | instskip(SKIP_1) | instid1(VALU_DEP_4)
	v_dual_fmac_f32 v101, 0xbeb8f4ab, v27 :: v_dual_add_f32 v4, v5, v4
	v_fmamk_f32 v5, v24, 0xbf7ee86f, v99
	v_dual_add_f32 v17, v60, v16 :: v_dual_add_f32 v16, v39, v18
	s_delay_alu instid0(VALU_DEP_4) | instskip(NEXT) | instid1(VALU_DEP_3)
	v_dual_add_f32 v18, v253, v54 :: v_dual_add_f32 v19, v20, v19
	v_dual_add_f32 v4, v5, v4 :: v_dual_fmamk_f32 v5, v23, 0x3f2c7751, v96
	v_fma_f32 v20, 0x3f3d2fb0, v28, -v67
	s_delay_alu instid0(VALU_DEP_3) | instskip(SKIP_1) | instid1(VALU_DEP_4)
	v_dual_add_f32 v18, v55, v18 :: v_dual_fmac_f32 v99, 0x3f7ee86f, v24
	v_fma_f32 v39, 0xbe8c1d8e, v35, -v91
	v_add_f32_e32 v4, v5, v4
	s_delay_alu instid0(VALU_DEP_3) | instskip(SKIP_2) | instid1(VALU_DEP_3)
	v_dual_fmamk_f32 v5, v37, 0xbf1a4643, v105 :: v_dual_add_f32 v18, v56, v18
	v_add_f32_e32 v19, v20, v19
	v_fma_f32 v20, 0xbf1a4643, v29, -v59
	v_add_f32_e32 v5, v252, v5
	s_delay_alu instid0(VALU_DEP_2) | instskip(SKIP_1) | instid1(VALU_DEP_3)
	v_add_f32_e32 v19, v20, v19
	v_fma_f32 v20, 0x3ee437d1, v32, -v78
	v_add_f32_e32 v5, v6, v5
	v_fmamk_f32 v6, v22, 0x3e3c28d5, v97
	v_fmac_f32_e32 v97, 0xbe3c28d5, v22
	s_delay_alu instid0(VALU_DEP_4) | instskip(SKIP_1) | instid1(VALU_DEP_4)
	v_add_f32_e32 v19, v20, v19
	v_fma_f32 v20, 0xbe8c1d8e, v33, -v75
	v_add_f32_e32 v4, v6, v4
	v_fmamk_f32 v6, v30, 0x3f6eb680, v108
	s_delay_alu instid0(VALU_DEP_1) | instskip(SKIP_1) | instid1(VALU_DEP_1)
	v_dual_add_f32 v20, v20, v19 :: v_dual_add_f32 v5, v6, v5
	v_fmamk_f32 v6, v28, 0xbf59a7d5, v112
	v_dual_add_f32 v5, v6, v5 :: v_dual_fmamk_f32 v6, v29, 0x3dbcf732, v111
	s_delay_alu instid0(VALU_DEP_1) | instskip(NEXT) | instid1(VALU_DEP_1)
	v_dual_add_f32 v5, v6, v5 :: v_dual_fmamk_f32 v6, v32, 0x3f3d2fb0, v114
	v_dual_add_f32 v5, v6, v5 :: v_dual_fmamk_f32 v6, v33, 0xbf7ba420, v103
	s_delay_alu instid0(VALU_DEP_1) | instskip(SKIP_1) | instid1(VALU_DEP_1)
	v_add_f32_e32 v6, v6, v5
	v_fmamk_f32 v5, v34, 0xbf65296c, v104
	v_dual_add_f32 v5, v5, v4 :: v_dual_fmamk_f32 v4, v35, 0x3ee437d1, v107
	s_delay_alu instid0(VALU_DEP_1) | instskip(SKIP_1) | instid1(VALU_DEP_1)
	v_add_f32_e32 v4, v4, v6
	v_fmamk_f32 v6, v36, 0x3f763a35, v115
	v_dual_fmac_f32 v115, 0xbf763a35, v36 :: v_dual_add_f32 v6, v253, v6
	s_delay_alu instid0(VALU_DEP_1) | instskip(SKIP_1) | instid1(VALU_DEP_1)
	v_add_f32_e32 v6, v7, v6
	v_fmamk_f32 v7, v27, 0xbf2c7751, v117
	v_dual_fmac_f32 v117, 0x3f2c7751, v27 :: v_dual_add_f32 v6, v7, v6
	v_fmamk_f32 v7, v26, 0x3f65296c, v118
	s_delay_alu instid0(VALU_DEP_1) | instskip(NEXT) | instid1(VALU_DEP_1)
	v_dual_add_f32 v6, v7, v6 :: v_dual_fmamk_f32 v7, v24, 0x3e3c28d5, v113
	v_dual_fmac_f32 v113, 0xbe3c28d5, v24 :: v_dual_add_f32 v6, v7, v6
	v_fmamk_f32 v7, v23, 0xbf7ee86f, v109
	s_delay_alu instid0(VALU_DEP_1) | instskip(SKIP_1) | instid1(VALU_DEP_1)
	v_dual_fmac_f32 v109, 0x3f7ee86f, v23 :: v_dual_add_f32 v6, v7, v6
	v_fmamk_f32 v7, v37, 0xbe8c1d8e, v124
	v_add_f32_e32 v7, v252, v7
	s_delay_alu instid0(VALU_DEP_1) | instskip(SKIP_1) | instid1(VALU_DEP_2)
	v_dual_add_f32 v7, v8, v7 :: v_dual_fmamk_f32 v8, v22, 0x3eb8f4ab, v110
	v_fmac_f32_e32 v100, 0x3f763a35, v25
	v_add_f32_e32 v6, v8, v6
	v_fmamk_f32 v8, v30, 0x3f3d2fb0, v119
	s_delay_alu instid0(VALU_DEP_1) | instskip(SKIP_1) | instid1(VALU_DEP_1)
	v_add_f32_e32 v7, v8, v7
	v_fmamk_f32 v8, v28, 0x3ee437d1, v185
	v_dual_add_f32 v7, v8, v7 :: v_dual_fmamk_f32 v8, v29, 0xbf7ba420, v127
	s_delay_alu instid0(VALU_DEP_1) | instskip(SKIP_1) | instid1(VALU_DEP_1)
	v_add_f32_e32 v7, v8, v7
	v_fmamk_f32 v8, v32, 0x3dbcf732, v186
	v_dual_add_f32 v7, v8, v7 :: v_dual_fmamk_f32 v8, v33, 0x3f6eb680, v120
	s_delay_alu instid0(VALU_DEP_1) | instskip(SKIP_1) | instid1(VALU_DEP_2)
	v_dual_add_f32 v8, v8, v7 :: v_dual_fmamk_f32 v7, v34, 0x3f4c4adb, v121
	v_fmac_f32_e32 v121, 0xbf4c4adb, v34
	v_add_f32_e32 v7, v7, v6
	v_fmamk_f32 v6, v35, 0xbf1a4643, v123
	v_fmac_f32_e32 v102, 0xbf06c442, v26
	s_delay_alu instid0(VALU_DEP_2) | instskip(SKIP_2) | instid1(VALU_DEP_2)
	v_add_f32_e32 v6, v6, v8
	v_fmamk_f32 v8, v36, 0x3f7ee86f, v207
	v_fmac_f32_e32 v207, 0xbf7ee86f, v36
	v_add_f32_e32 v8, v253, v8
	s_delay_alu instid0(VALU_DEP_1) | instskip(NEXT) | instid1(VALU_DEP_1)
	v_dual_add_f32 v8, v9, v8 :: v_dual_fmamk_f32 v9, v27, 0xbf763a35, v213
	v_dual_add_f32 v8, v9, v8 :: v_dual_fmamk_f32 v9, v26, 0xbeb8f4ab, v214
	s_delay_alu instid0(VALU_DEP_1) | instskip(SKIP_2) | instid1(VALU_DEP_2)
	v_dual_fmac_f32 v213, 0x3f763a35, v27 :: v_dual_add_f32 v8, v9, v8
	v_fmamk_f32 v9, v24, 0x3f65296c, v216
	v_fmac_f32_e32 v216, 0xbf65296c, v24
	v_dual_add_f32 v8, v9, v8 :: v_dual_fmamk_f32 v9, v23, 0x3f06c442, v187
	v_fmac_f32_e32 v187, 0xbf06c442, v23
	v_fma_f32 v42, 0xbf59a7d5, v31, -v126
	s_delay_alu instid0(VALU_DEP_3) | instskip(SKIP_1) | instid1(VALU_DEP_1)
	v_add_f32_e32 v8, v9, v8
	v_fmamk_f32 v9, v37, 0x3dbcf732, v220
	v_add_f32_e32 v9, v252, v9
	v_fma_f32 v40, 0xbe8c1d8e, v31, -v106
	s_delay_alu instid0(VALU_DEP_2) | instskip(SKIP_1) | instid1(VALU_DEP_2)
	v_dual_fmac_f32 v58, 0x3f2c7751, v26 :: v_dual_add_f32 v9, v10, v9
	v_fmamk_f32 v10, v22, 0xbf4c4adb, v188
	v_add_f32_e32 v18, v58, v18
	s_delay_alu instid0(VALU_DEP_2) | instskip(SKIP_1) | instid1(VALU_DEP_1)
	v_add_f32_e32 v8, v10, v8
	v_fmamk_f32 v10, v30, 0xbe8c1d8e, v211
	v_dual_add_f32 v18, v53, v18 :: v_dual_add_f32 v9, v10, v9
	v_fmamk_f32 v10, v28, 0x3f6eb680, v223
	s_delay_alu instid0(VALU_DEP_1) | instskip(SKIP_1) | instid1(VALU_DEP_1)
	v_dual_add_f32 v18, v52, v18 :: v_dual_add_f32 v9, v10, v9
	v_fmamk_f32 v10, v29, 0x3ee437d1, v228
	v_dual_add_f32 v18, v51, v18 :: v_dual_add_f32 v9, v10, v9
	v_fmamk_f32 v10, v32, 0xbf59a7d5, v212
	s_delay_alu instid0(VALU_DEP_2) | instskip(SKIP_2) | instid1(VALU_DEP_4)
	v_dual_add_f32 v19, v76, v18 :: v_dual_add_f32 v18, v21, v20
	v_add_f32_e32 v20, v253, v82
	v_fma_f32 v21, 0xbf59a7d5, v37, -v92
	v_dual_add_f32 v9, v10, v9 :: v_dual_fmamk_f32 v10, v33, 0xbf1a4643, v215
	s_delay_alu instid0(VALU_DEP_2) | instskip(NEXT) | instid1(VALU_DEP_2)
	v_dual_add_f32 v20, v83, v20 :: v_dual_add_f32 v21, v252, v21
	v_add_f32_e32 v10, v10, v9
	v_fmamk_f32 v9, v34, 0xbf2c7751, v122
	s_delay_alu instid0(VALU_DEP_3) | instskip(NEXT) | instid1(VALU_DEP_4)
	v_add_f32_e32 v20, v86, v20
	v_add_f32_e32 v21, v38, v21
	v_fma_f32 v38, 0x3dbcf732, v30, -v84
	s_delay_alu instid0(VALU_DEP_4) | instskip(NEXT) | instid1(VALU_DEP_2)
	v_dual_add_f32 v9, v9, v8 :: v_dual_fmamk_f32 v8, v35, 0x3f3d2fb0, v184
	v_dual_add_f32 v20, v87, v20 :: v_dual_add_f32 v21, v38, v21
	v_fma_f32 v38, 0xbf1a4643, v28, -v94
	v_fmac_f32_e32 v104, 0x3f65296c, v34
	s_delay_alu instid0(VALU_DEP_4) | instskip(SKIP_1) | instid1(VALU_DEP_4)
	v_add_f32_e32 v8, v8, v10
	v_fmamk_f32 v10, v36, 0x3f65296c, v201
	v_dual_add_f32 v20, v89, v20 :: v_dual_add_f32 v21, v38, v21
	v_fma_f32 v38, 0x3f6eb680, v29, -v95
	s_delay_alu instid0(VALU_DEP_3) | instskip(NEXT) | instid1(VALU_DEP_2)
	v_dual_fmac_f32 v201, 0xbf65296c, v36 :: v_dual_add_f32 v10, v253, v10
	v_dual_add_f32 v20, v80, v20 :: v_dual_add_f32 v21, v38, v21
	v_fma_f32 v38, 0xbf7ba420, v32, -v85
	s_delay_alu instid0(VALU_DEP_3) | instskip(NEXT) | instid1(VALU_DEP_3)
	v_add_f32_e32 v10, v11, v10
	v_dual_fmamk_f32 v11, v27, 0xbe3c28d5, v206 :: v_dual_add_f32 v20, v81, v20
	s_delay_alu instid0(VALU_DEP_3) | instskip(SKIP_1) | instid1(VALU_DEP_3)
	v_dual_fmac_f32 v206, 0x3e3c28d5, v27 :: v_dual_add_f32 v21, v38, v21
	v_fma_f32 v38, 0x3f3d2fb0, v33, -v88
	v_dual_add_f32 v10, v11, v10 :: v_dual_fmamk_f32 v11, v26, 0xbf763a35, v208
	s_delay_alu instid0(VALU_DEP_2) | instskip(NEXT) | instid1(VALU_DEP_2)
	v_add_f32_e32 v38, v38, v21
	v_dual_add_f32 v10, v11, v10 :: v_dual_fmamk_f32 v11, v24, 0xbf2c7751, v196
	s_delay_alu instid0(VALU_DEP_1) | instskip(SKIP_1) | instid1(VALU_DEP_1)
	v_add_f32_e32 v10, v11, v10
	v_fmamk_f32 v11, v23, 0x3eb8f4ab, v193
	v_dual_fmac_f32 v193, 0xbeb8f4ab, v23 :: v_dual_add_f32 v10, v11, v10
	v_fmamk_f32 v11, v37, 0x3ee437d1, v218
	s_delay_alu instid0(VALU_DEP_1) | instskip(NEXT) | instid1(VALU_DEP_1)
	v_dual_fmac_f32 v118, 0xbf65296c, v26 :: v_dual_add_f32 v11, v252, v11
	v_dual_add_f32 v11, v12, v11 :: v_dual_fmamk_f32 v12, v22, 0x3f7ee86f, v198
	v_fmac_f32_e32 v198, 0xbf7ee86f, v22
	s_delay_alu instid0(VALU_DEP_2) | instskip(SKIP_2) | instid1(VALU_DEP_2)
	v_add_f32_e32 v10, v12, v10
	v_fmamk_f32 v12, v30, 0xbf7ba420, v226
	v_fma_f32 v46, 0xbf1a4643, v31, -v221
	v_add_f32_e32 v11, v12, v11
	v_fmamk_f32 v12, v28, 0xbe8c1d8e, v238
	s_delay_alu instid0(VALU_DEP_1) | instskip(NEXT) | instid1(VALU_DEP_1)
	v_dual_add_f32 v11, v12, v11 :: v_dual_fmamk_f32 v12, v29, 0x3f3d2fb0, v240
	v_add_f32_e32 v11, v12, v11
	v_fmamk_f32 v12, v32, 0x3f6eb680, v242
	s_delay_alu instid0(VALU_DEP_1) | instskip(SKIP_1) | instid1(VALU_DEP_2)
	v_dual_add_f32 v11, v12, v11 :: v_dual_fmamk_f32 v12, v33, 0x3dbcf732, v243
	v_fmac_f32_e32 v210, 0xbe3c28d5, v25
	v_dual_add_f32 v12, v12, v11 :: v_dual_fmamk_f32 v11, v34, 0x3f06c442, v239
	v_fmac_f32_e32 v239, 0xbf06c442, v34
	s_delay_alu instid0(VALU_DEP_2) | instskip(SKIP_1) | instid1(VALU_DEP_1)
	v_dual_fmac_f32 v116, 0x3f06c442, v25 :: v_dual_add_f32 v11, v11, v10
	v_fmamk_f32 v10, v35, 0xbf59a7d5, v244
	v_add_f32_e32 v10, v10, v12
	v_fmamk_f32 v12, v36, 0x3f2c7751, v234
	v_fmac_f32_e32 v234, 0xbf2c7751, v36
	s_delay_alu instid0(VALU_DEP_2) | instskip(NEXT) | instid1(VALU_DEP_1)
	v_add_f32_e32 v12, v253, v12
	v_dual_add_f32 v12, v13, v12 :: v_dual_fmamk_f32 v13, v27, 0x3f4c4adb, v229
	s_delay_alu instid0(VALU_DEP_1) | instskip(SKIP_1) | instid1(VALU_DEP_1)
	v_dual_fmac_f32 v229, 0xbf4c4adb, v27 :: v_dual_add_f32 v12, v13, v12
	v_fmamk_f32 v13, v26, 0x3e3c28d5, v231
	v_dual_fmac_f32 v231, 0xbe3c28d5, v26 :: v_dual_add_f32 v12, v13, v12
	v_fmamk_f32 v13, v24, 0xbf06c442, v232
	s_delay_alu instid0(VALU_DEP_1) | instskip(NEXT) | instid1(VALU_DEP_1)
	v_dual_add_f32 v12, v13, v12 :: v_dual_fmamk_f32 v13, v23, 0xbf763a35, v233
	v_dual_fmac_f32 v233, 0x3f763a35, v23 :: v_dual_add_f32 v12, v13, v12
	v_fmamk_f32 v13, v37, 0x3f3d2fb0, v245
	v_fmac_f32_e32 v122, 0x3f2c7751, v34
	s_delay_alu instid0(VALU_DEP_2) | instskip(NEXT) | instid1(VALU_DEP_1)
	v_dual_fmac_f32 v96, 0xbf2c7751, v23 :: v_dual_add_f32 v13, v252, v13
	v_add_f32_e32 v13, v125, v13
	v_fmamk_f32 v125, v22, 0xbf65296c, v237
	s_delay_alu instid0(VALU_DEP_1) | instskip(SKIP_2) | instid1(VALU_DEP_1)
	v_dual_fmac_f32 v237, 0x3f65296c, v22 :: v_dual_add_f32 v12, v125, v12
	v_mul_f32_e32 v125, 0xbf4c4adb, v195
	v_fma_f32 v36, 0x3f3d2fb0, v37, -v245
	v_dual_fmamk_f32 v189, v30, 0xbf1a4643, v125 :: v_dual_add_f32 v36, v252, v36
	s_delay_alu instid0(VALU_DEP_1) | instskip(SKIP_4) | instid1(VALU_DEP_2)
	v_dual_fmac_f32 v188, 0x3f4c4adb, v22 :: v_dual_add_f32 v13, v189, v13
	v_mul_f32_e32 v189, 0xbe3c28d5, v200
	v_fma_f32 v44, 0xbf7ba420, v31, -v222
	v_fmac_f32_e32 v90, 0xbf763a35, v34
	v_fmac_f32_e32 v214, 0x3eb8f4ab, v26
	v_dual_fmamk_f32 v192, v28, 0xbf7ba420, v189 :: v_dual_add_f32 v21, v90, v20
	v_add_f32_e32 v20, v39, v38
	v_fma_f32 v39, 0xbf1a4643, v37, -v105
	s_delay_alu instid0(VALU_DEP_3) | instskip(NEXT) | instid1(VALU_DEP_2)
	v_dual_add_f32 v13, v192, v13 :: v_dual_mul_f32 v192, 0x3f06c442, v191
	v_dual_add_f32 v38, v253, v98 :: v_dual_add_f32 v39, v252, v39
	s_delay_alu instid0(VALU_DEP_1) | instskip(NEXT) | instid1(VALU_DEP_2)
	v_dual_fmamk_f32 v197, v29, 0xbf59a7d5, v192 :: v_dual_add_f32 v38, v100, v38
	v_add_f32_e32 v39, v40, v39
	v_fma_f32 v40, 0x3f6eb680, v30, -v108
	s_delay_alu instid0(VALU_DEP_3) | instskip(NEXT) | instid1(VALU_DEP_4)
	v_add_f32_e32 v13, v197, v13
	v_dual_mul_f32 v197, 0x3f763a35, v224 :: v_dual_add_f32 v38, v101, v38
	s_delay_alu instid0(VALU_DEP_3) | instskip(SKIP_1) | instid1(VALU_DEP_3)
	v_add_f32_e32 v39, v40, v39
	v_fma_f32 v40, 0xbf59a7d5, v28, -v112
	v_fmamk_f32 v202, v32, 0xbe8c1d8e, v197
	s_delay_alu instid0(VALU_DEP_2) | instskip(NEXT) | instid1(VALU_DEP_2)
	v_dual_add_f32 v38, v102, v38 :: v_dual_add_f32 v39, v40, v39
	v_dual_add_f32 v13, v202, v13 :: v_dual_mul_f32 v202, 0x3f65296c, v235
	v_fma_f32 v40, 0x3dbcf732, v29, -v111
	s_delay_alu instid0(VALU_DEP_3) | instskip(NEXT) | instid1(VALU_DEP_2)
	v_add_f32_e32 v38, v99, v38
	v_dual_fmamk_f32 v204, v33, 0x3ee437d1, v202 :: v_dual_add_f32 v39, v40, v39
	v_fma_f32 v40, 0x3f3d2fb0, v32, -v114
	s_delay_alu instid0(VALU_DEP_3) | instskip(NEXT) | instid1(VALU_DEP_3)
	v_add_f32_e32 v38, v96, v38
	v_add_f32_e32 v246, v204, v13
	s_delay_alu instid0(VALU_DEP_3) | instskip(SKIP_1) | instid1(VALU_DEP_2)
	v_dual_mul_f32 v204, 0x3f6eb680, v225 :: v_dual_add_f32 v39, v40, v39
	v_fma_f32 v40, 0xbf7ba420, v33, -v103
	v_dual_add_f32 v38, v97, v38 :: v_dual_fmamk_f32 v13, v34, 0xbeb8f4ab, v204
	v_fmac_f32_e32 v204, 0x3eb8f4ab, v34
	s_delay_alu instid0(VALU_DEP_3) | instskip(NEXT) | instid1(VALU_DEP_3)
	v_add_f32_e32 v40, v40, v39
	v_add_f32_e32 v39, v104, v38
	s_delay_alu instid0(VALU_DEP_4) | instskip(NEXT) | instid1(VALU_DEP_3)
	v_dual_add_f32 v13, v13, v12 :: v_dual_fmamk_f32 v12, v35, 0x3f6eb680, v241
	v_add_f32_e32 v38, v41, v40
	v_fma_f32 v41, 0xbe8c1d8e, v37, -v124
	v_add_f32_e32 v40, v253, v115
	v_fma_f32 v45, 0x3f3d2fb0, v35, -v184
	v_add_f32_e32 v12, v12, v246
	v_mul_f32_e32 v246, 0x3ee437d1, v194
	v_mul_f32_e32 v194, 0xbe8c1d8e, v205
	v_add_f32_e32 v41, v252, v41
	v_add_f32_e32 v40, v116, v40
	s_delay_alu instid0(VALU_DEP_4) | instskip(NEXT) | instid1(VALU_DEP_3)
	v_fmamk_f32 v190, v27, 0x3f65296c, v246
	v_dual_fmac_f32 v246, 0xbf65296c, v27 :: v_dual_add_f32 v41, v42, v41
	v_fma_f32 v42, 0x3f3d2fb0, v30, -v119
	s_delay_alu instid0(VALU_DEP_3) | instskip(SKIP_1) | instid1(VALU_DEP_3)
	v_dual_add_f32 v40, v117, v40 :: v_dual_add_f32 v15, v190, v15
	v_fmamk_f32 v190, v26, 0x3f7ee86f, v199
	v_dual_fmac_f32 v196, 0x3f2c7751, v24 :: v_dual_add_f32 v41, v42, v41
	v_fma_f32 v42, 0x3ee437d1, v28, -v185
	s_delay_alu instid0(VALU_DEP_4) | instskip(NEXT) | instid1(VALU_DEP_4)
	v_add_f32_e32 v40, v118, v40
	v_dual_add_f32 v15, v190, v15 :: v_dual_fmamk_f32 v190, v24, 0x3f763a35, v194
	s_delay_alu instid0(VALU_DEP_3) | instskip(SKIP_1) | instid1(VALU_DEP_3)
	v_dual_fmac_f32 v194, 0xbf763a35, v24 :: v_dual_add_f32 v41, v42, v41
	v_fma_f32 v42, 0xbf7ba420, v29, -v127
	v_dual_add_f32 v40, v113, v40 :: v_dual_add_f32 v15, v190, v15
	v_mul_f32_e32 v190, 0xbf1a4643, v209
	v_mul_f32_e32 v209, 0xbf2c7751, v219
	s_delay_alu instid0(VALU_DEP_4) | instskip(SKIP_1) | instid1(VALU_DEP_4)
	v_add_f32_e32 v41, v42, v41
	v_fma_f32 v42, 0x3dbcf732, v32, -v186
	v_dual_add_f32 v40, v109, v40 :: v_dual_fmamk_f32 v205, v23, 0x3f4c4adb, v190
	s_delay_alu instid0(VALU_DEP_4) | instskip(SKIP_1) | instid1(VALU_DEP_4)
	v_fmamk_f32 v217, v31, 0x3f3d2fb0, v209
	v_fma_f32 v25, 0x3f3d2fb0, v31, -v209
	v_add_f32_e32 v41, v42, v41
	v_fma_f32 v42, 0x3f6eb680, v33, -v120
	v_add_f32_e32 v15, v205, v15
	v_fmamk_f32 v205, v37, 0x3f6eb680, v249
	v_fmac_f32_e32 v190, 0xbf4c4adb, v23
	s_delay_alu instid0(VALU_DEP_4) | instskip(NEXT) | instid1(VALU_DEP_3)
	v_dual_fmac_f32 v199, 0xbf7ee86f, v26 :: v_dual_add_f32 v42, v42, v41
	v_dual_add_f32 v205, v252, v205 :: v_dual_fmac_f32 v208, 0x3f763a35, v26
	s_delay_alu instid0(VALU_DEP_1)
	v_add_f32_e32 v219, v217, v205
	v_mul_f32_e32 v205, 0xbf59a7d5, v14
	v_mul_f32_e32 v217, 0xbf65296c, v195
	;; [unrolled: 1-line block ×3, first 2 shown]
	v_fma_f32 v48, 0x3dbcf732, v31, -v236
	v_fma_f32 v31, 0xbf1a4643, v30, -v125
	v_fmamk_f32 v14, v22, 0x3f06c442, v205
	v_fma_f32 v27, 0x3ee437d1, v30, -v217
	v_fmamk_f32 v200, v28, 0x3dbcf732, v195
	v_add_f32_e32 v36, v48, v36
	v_fmac_f32_e32 v110, 0xbeb8f4ab, v22
	v_add_f32_e32 v14, v14, v15
	v_fmamk_f32 v15, v30, 0x3ee437d1, v217
	v_fma_f32 v26, 0x3dbcf732, v28, -v195
	v_add_f32_e32 v31, v31, v36
	v_dual_add_f32 v40, v110, v40 :: v_dual_fmac_f32 v205, 0xbf06c442, v22
	s_delay_alu instid0(VALU_DEP_4) | instskip(SKIP_1) | instid1(VALU_DEP_3)
	v_add_f32_e32 v15, v15, v219
	v_mul_f32_e32 v219, 0xbf4c4adb, v224
	v_dual_mul_f32 v224, 0xbf06c442, v235 :: v_dual_add_f32 v41, v121, v40
	s_delay_alu instid0(VALU_DEP_3) | instskip(SKIP_3) | instid1(VALU_DEP_3)
	v_dual_add_f32 v40, v43, v42 :: v_dual_add_f32 v15, v200, v15
	v_mul_f32_e32 v200, 0xbf763a35, v191
	v_fma_f32 v43, 0x3dbcf732, v37, -v220
	v_add_f32_e32 v42, v253, v207
	v_fmamk_f32 v191, v29, 0xbe8c1d8e, v200
	s_delay_alu instid0(VALU_DEP_2) | instskip(NEXT) | instid1(VALU_DEP_2)
	v_dual_add_f32 v43, v252, v43 :: v_dual_add_f32 v42, v210, v42
	v_add_f32_e32 v15, v191, v15
	v_fmamk_f32 v191, v32, 0xbf1a4643, v219
	s_delay_alu instid0(VALU_DEP_3) | instskip(SKIP_1) | instid1(VALU_DEP_3)
	v_add_f32_e32 v43, v44, v43
	v_fma_f32 v44, 0xbe8c1d8e, v30, -v211
	v_dual_add_f32 v42, v213, v42 :: v_dual_add_f32 v15, v191, v15
	v_fmamk_f32 v191, v33, 0xbf59a7d5, v224
	s_delay_alu instid0(VALU_DEP_3) | instskip(SKIP_1) | instid1(VALU_DEP_4)
	v_add_f32_e32 v43, v44, v43
	v_fma_f32 v44, 0x3f6eb680, v28, -v223
	v_add_f32_e32 v42, v214, v42
	v_fma_f32 v47, 0xbf59a7d5, v35, -v244
	v_add_f32_e32 v235, v191, v15
	v_mul_f32_e32 v191, 0xbf7ba420, v225
	v_mul_f32_e32 v225, 0xbe3c28d5, v230
	v_add_f32_e32 v43, v44, v43
	v_fma_f32 v44, 0x3ee437d1, v29, -v228
	s_delay_alu instid0(VALU_DEP_4) | instskip(SKIP_2) | instid1(VALU_DEP_4)
	v_dual_add_f32 v42, v216, v42 :: v_dual_fmamk_f32 v15, v34, 0x3e3c28d5, v191
	v_fmac_f32_e32 v232, 0x3f06c442, v24
	v_fmac_f32_e32 v191, 0xbe3c28d5, v34
	v_add_f32_e32 v43, v44, v43
	v_fma_f32 v44, 0xbf59a7d5, v32, -v212
	v_add_f32_e32 v15, v15, v14
	v_fmamk_f32 v14, v35, 0xbf7ba420, v225
	s_delay_alu instid0(VALU_DEP_3) | instskip(SKIP_1) | instid1(VALU_DEP_3)
	v_dual_add_f32 v42, v187, v42 :: v_dual_add_f32 v43, v44, v43
	v_fma_f32 v44, 0xbf1a4643, v33, -v215
	v_add_f32_e32 v14, v14, v235
	s_delay_alu instid0(VALU_DEP_3) | instskip(NEXT) | instid1(VALU_DEP_1)
	v_add_f32_e32 v42, v188, v42
	v_dual_add_f32 v44, v44, v43 :: v_dual_add_f32 v43, v122, v42
	s_delay_alu instid0(VALU_DEP_1) | instskip(SKIP_3) | instid1(VALU_DEP_2)
	v_add_f32_e32 v42, v45, v44
	v_fma_f32 v45, 0x3ee437d1, v37, -v218
	v_add_f32_e32 v44, v253, v201
	v_fma_f32 v37, 0x3f6eb680, v37, -v249
	v_dual_add_f32 v45, v252, v45 :: v_dual_add_f32 v44, v203, v44
	s_delay_alu instid0(VALU_DEP_2) | instskip(NEXT) | instid1(VALU_DEP_2)
	v_add_f32_e32 v37, v252, v37
	v_add_f32_e32 v45, v46, v45
	v_fma_f32 v46, 0xbf7ba420, v30, -v226
	s_delay_alu instid0(VALU_DEP_3) | instskip(SKIP_1) | instid1(VALU_DEP_3)
	v_dual_add_f32 v44, v206, v44 :: v_dual_add_f32 v25, v25, v37
	v_fma_f32 v30, 0xbf7ba420, v28, -v189
	v_add_f32_e32 v45, v46, v45
	v_fma_f32 v46, 0xbe8c1d8e, v28, -v238
	s_delay_alu instid0(VALU_DEP_4) | instskip(NEXT) | instid1(VALU_DEP_4)
	v_add_f32_e32 v44, v208, v44
	v_dual_add_f32 v30, v30, v31 :: v_dual_add_f32 v25, v27, v25
	v_fma_f32 v27, 0xbf59a7d5, v29, -v192
	s_delay_alu instid0(VALU_DEP_4) | instskip(SKIP_2) | instid1(VALU_DEP_4)
	v_add_f32_e32 v45, v46, v45
	v_fma_f32 v46, 0x3f3d2fb0, v29, -v240
	v_add_f32_e32 v44, v196, v44
	v_dual_add_f32 v24, v26, v25 :: v_dual_add_f32 v27, v27, v30
	v_fma_f32 v26, 0xbe8c1d8e, v32, -v197
	v_fma_f32 v25, 0xbe8c1d8e, v29, -v200
	v_add_f32_e32 v45, v46, v45
	v_fma_f32 v46, 0x3f6eb680, v32, -v242
	v_add_f32_e32 v44, v193, v44
	s_delay_alu instid0(VALU_DEP_4) | instskip(SKIP_4) | instid1(VALU_DEP_4)
	v_dual_add_f32 v26, v26, v27 :: v_dual_add_f32 v23, v25, v24
	v_fma_f32 v25, 0x3ee437d1, v33, -v202
	v_fma_f32 v24, 0xbf1a4643, v32, -v219
	v_add_f32_e32 v45, v46, v45
	v_fma_f32 v46, 0x3dbcf732, v33, -v243
	v_dual_add_f32 v44, v198, v44 :: v_dual_add_f32 v25, v25, v26
	s_delay_alu instid0(VALU_DEP_4) | instskip(SKIP_1) | instid1(VALU_DEP_3)
	v_add_f32_e32 v22, v24, v23
	v_fma_f32 v24, 0xbf59a7d5, v33, -v224
	v_dual_add_f32 v46, v46, v45 :: v_dual_add_f32 v45, v239, v44
	s_delay_alu instid0(VALU_DEP_2) | instskip(NEXT) | instid1(VALU_DEP_2)
	v_add_f32_e32 v24, v24, v22
	v_dual_add_f32 v44, v47, v46 :: v_dual_add_f32 v47, v253, v248
	v_add_f32_e32 v46, v253, v234
	s_delay_alu instid0(VALU_DEP_2) | instskip(NEXT) | instid1(VALU_DEP_1)
	v_add_f32_e32 v36, v247, v47
	v_dual_add_f32 v46, v227, v46 :: v_dual_add_f32 v31, v246, v36
	s_delay_alu instid0(VALU_DEP_1) | instskip(NEXT) | instid1(VALU_DEP_2)
	v_add_f32_e32 v46, v229, v46
	v_add_f32_e32 v28, v199, v31
	s_delay_alu instid0(VALU_DEP_1)
	v_dual_add_f32 v46, v231, v46 :: v_dual_add_f32 v27, v194, v28
	s_clause 0x1
	scratch_load_b32 v28, off, off offset:296
	scratch_load_b32 v29, off, off offset:468
	v_add_f32_e32 v46, v232, v46
	v_add_f32_e32 v26, v190, v27
	v_fma_f32 v27, 0x3f6eb680, v35, -v241
	s_delay_alu instid0(VALU_DEP_3) | instskip(NEXT) | instid1(VALU_DEP_3)
	v_add_f32_e32 v46, v233, v46
	v_add_f32_e32 v26, v205, v26
	s_delay_alu instid0(VALU_DEP_3) | instskip(NEXT) | instid1(VALU_DEP_3)
	v_add_f32_e32 v22, v27, v25
	v_add_f32_e32 v46, v237, v46
	s_delay_alu instid0(VALU_DEP_3) | instskip(NEXT) | instid1(VALU_DEP_2)
	v_add_f32_e32 v25, v191, v26
	v_add_f32_e32 v23, v204, v46
	s_waitcnt vmcnt(0)
	v_lshl_add_u32 v28, v29, 3, v28
	v_fma_f32 v29, 0xbf7ba420, v35, -v225
	s_delay_alu instid0(VALU_DEP_2) | instskip(SKIP_1) | instid1(VALU_DEP_3)
	v_add_nc_u32_e32 v30, 0x800, v28
	v_add_nc_u32_e32 v26, 0x1000, v28
	v_add_f32_e32 v24, v29, v24
	ds_store_2addr_b64 v30, v[16:17], v[14:15] offset0:220 offset1:227
	ds_store_2addr_b64 v30, v[12:13], v[10:11] offset0:234 offset1:241
	;; [unrolled: 1-line block ×8, first 2 shown]
	ds_store_b64 v28, v[24:25] offset:4704
.LBB0_9:
	s_or_b32 exec_lo, exec_lo, s0
	s_waitcnt lgkmcnt(0)
	s_barrier
	buffer_gl0_inv
	ds_load_2addr_b64 v[0:3], v255 offset0:102 offset1:119
	v_add_nc_u32_e32 v42, 0x800, v255
	s_mov_b32 s0, 0x1b89401c
	s_mov_b32 s1, 0x3f5b8940
	s_waitcnt lgkmcnt(0)
	v_mul_f32_e32 v57, v141, v2
	ds_load_2addr_b64 v[12:15], v255 offset1:17
	ds_load_2addr_b64 v[16:19], v255 offset0:238 offset1:255
	ds_load_2addr_b64 v[20:23], v42 offset0:84 offset1:101
	;; [unrolled: 1-line block ×3, first 2 shown]
	v_add_nc_u32_e32 v43, 0x1000, v255
	v_fma_f32 v88, v140, v3, -v57
	s_waitcnt lgkmcnt(1)
	v_dual_mul_f32 v89, v143, v17 :: v_dual_mul_f32 v90, v133, v23
	v_mul_f32_e32 v87, v141, v3
	v_dual_mul_f32 v3, v133, v22 :: v_dual_mul_f32 v94, v131, v19
	s_waitcnt lgkmcnt(0)
	s_delay_alu instid0(VALU_DEP_3) | instskip(NEXT) | instid1(VALU_DEP_3)
	v_dual_mul_f32 v91, v135, v25 :: v_dual_fmac_f32 v90, v132, v22
	v_dual_fmac_f32 v87, v140, v2 :: v_dual_add_nc_u32 v44, 0xc00, v255
	ds_load_2addr_b64 v[28:31], v255 offset0:136 offset1:153
	ds_load_2addr_b64 v[32:35], v42 offset0:118 offset1:135
	;; [unrolled: 1-line block ×5, first 2 shown]
	v_mul_f32_e32 v2, v143, v16
	ds_load_2addr_b64 v[49:52], v255 offset0:170 offset1:187
	ds_load_2addr_b64 v[53:56], v42 offset0:152 offset1:169
	;; [unrolled: 1-line block ×5, first 2 shown]
	v_fmac_f32_e32 v89, v142, v16
	ds_load_2addr_b64 v[79:82], v255 offset0:204 offset1:221
	ds_load_2addr_b64 v[83:86], v42 offset0:186 offset1:203
	ds_load_b64 v[40:41], v255 offset:4624
	v_mul_f32_e32 v16, v131, v18
	v_fma_f32 v92, v142, v17, -v2
	v_mul_f32_e32 v2, v135, v24
	v_fma_f32 v22, v132, v23, -v3
	v_fmac_f32_e32 v94, v130, v18
	v_fmac_f32_e32 v91, v134, v24
	v_fma_f32 v96, v130, v19, -v16
	v_fma_f32 v23, v134, v25, -v2
	v_mul_f32_e32 v25, v139, v27
	s_waitcnt lgkmcnt(12)
	v_dual_sub_f32 v18, v87, v89 :: v_dual_mul_f32 v3, v129, v28
	s_waitcnt lgkmcnt(11)
	s_delay_alu instid0(VALU_DEP_2)
	v_dual_mul_f32 v2, v137, v32 :: v_dual_fmac_f32 v25, v138, v26
	s_waitcnt lgkmcnt(9)
	v_mul_f32_e32 v98, v151, v37
	s_waitcnt lgkmcnt(8)
	v_dual_mul_f32 v106, v183, v48 :: v_dual_mul_f32 v93, v129, v29
	v_fma_f32 v95, v128, v29, -v3
	v_dual_mul_f32 v29, v137, v33 :: v_dual_mul_f32 v70, v175, v39
	s_delay_alu instid0(VALU_DEP_3) | instskip(SKIP_2) | instid1(VALU_DEP_4)
	v_dual_mul_f32 v3, v139, v26 :: v_dual_fmac_f32 v106, v182, v47
	v_fmac_f32_e32 v98, v150, v36
	v_fmac_f32_e32 v93, v128, v28
	v_dual_fmac_f32 v29, v136, v32 :: v_dual_mul_f32 v16, v145, v34
	v_fma_f32 v32, v136, v33, -v2
	v_mul_f32_e32 v2, v149, v30
	v_mul_f32_e32 v97, v149, v31
	v_fma_f32 v33, v138, v27, -v3
	v_dual_mul_f32 v3, v151, v36 :: v_dual_fmac_f32 v70, v174, v38
	s_delay_alu instid0(VALU_DEP_4) | instskip(SKIP_1) | instid1(VALU_DEP_3)
	v_fma_f32 v100, v148, v31, -v2
	v_dual_mul_f32 v2, v147, v45 :: v_dual_mul_f32 v99, v145, v35
	v_fma_f32 v101, v150, v37, -v3
	v_fma_f32 v102, v144, v35, -v16
	s_waitcnt lgkmcnt(6)
	v_dual_mul_f32 v35, v147, v46 :: v_dual_mul_f32 v64, v169, v56
	v_mul_f32_e32 v103, v173, v50
	s_waitcnt lgkmcnt(3)
	v_dual_mul_f32 v3, v173, v49 :: v_dual_mul_f32 v68, v171, v76
	v_fma_f32 v104, v146, v46, -v2
	v_mul_f32_e32 v2, v175, v38
	v_fmac_f32_e32 v99, v144, v34
	s_delay_alu instid0(VALU_DEP_4)
	v_fma_f32 v69, v172, v50, -v3
	v_fmac_f32_e32 v64, v168, v55
	s_waitcnt lgkmcnt(2)
	v_dual_fmac_f32 v103, v172, v49 :: v_dual_mul_f32 v58, v165, v80
	v_mul_f32_e32 v3, v181, v53
	v_fma_f32 v107, v174, v39, -v2
	v_dual_mul_f32 v2, v177, v51 :: v_dual_fmac_f32 v97, v148, v30
	v_dual_mul_f32 v16, v183, v47 :: v_dual_fmac_f32 v35, v146, v45
	v_dual_mul_f32 v105, v181, v54 :: v_dual_fmac_f32 v68, v170, v75
	v_mul_f32_e32 v67, v177, v52
	s_delay_alu instid0(VALU_DEP_4)
	v_fma_f32 v61, v176, v52, -v2
	v_mul_f32_e32 v2, v169, v55
	v_fmac_f32_e32 v58, v164, v79
	v_fma_f32 v108, v180, v54, -v3
	v_mul_f32_e32 v3, v179, v71
	v_fmac_f32_e32 v105, v180, v53
	v_fma_f32 v109, v182, v48, -v16
	v_mul_f32_e32 v16, v165, v79
	v_fma_f32 v65, v168, v56, -v2
	v_dual_mul_f32 v2, v167, v73 :: v_dual_fmac_f32 v67, v176, v51
	v_mul_f32_e32 v60, v163, v78
	v_dual_mul_f32 v63, v179, v72 :: v_dual_mul_f32 v48, v153, v82
	v_fma_f32 v62, v178, v72, -v3
	v_mul_f32_e32 v3, v171, v75
	v_fma_f32 v53, v164, v80, -v16
	v_mul_f32_e32 v55, v167, v74
	v_fma_f32 v54, v166, v74, -v2
	v_fmac_f32_e32 v60, v162, v77
	v_dual_fmac_f32 v63, v178, v71 :: v_dual_mul_f32 v2, v163, v77
	v_mul_f32_e32 v16, v155, v20
	v_fmac_f32_e32 v48, v152, v81
	v_fma_f32 v66, v170, v76, -v3
	s_waitcnt lgkmcnt(1)
	v_mul_f32_e32 v3, v161, v83
	s_waitcnt lgkmcnt(0)
	v_dual_mul_f32 v57, v161, v84 :: v_dual_mul_f32 v52, v159, v41
	v_fma_f32 v59, v162, v78, -v2
	v_fma_f32 v46, v154, v21, -v16
	;; [unrolled: 1-line block ×3, first 2 shown]
	s_delay_alu instid0(VALU_DEP_4) | instskip(SKIP_2) | instid1(VALU_DEP_3)
	v_dual_mul_f32 v3, v153, v81 :: v_dual_fmac_f32 v52, v158, v40
	v_add_f32_e32 v2, v89, v90
	v_dual_add_f32 v16, v12, v87 :: v_dual_fmac_f32 v55, v166, v73
	v_fma_f32 v45, v152, v82, -v3
	v_mul_f32_e32 v3, v157, v85
	s_delay_alu instid0(VALU_DEP_4)
	v_fma_f32 v2, -0.5, v2, v12
	v_sub_f32_e32 v17, v88, v23
	v_mul_f32_e32 v47, v155, v21
	v_dual_fmac_f32 v57, v160, v83 :: v_dual_mul_f32 v50, v157, v86
	v_fma_f32 v49, v156, v86, -v3
	v_dual_add_f32 v3, v16, v89 :: v_dual_mul_f32 v24, v159, v40
	s_delay_alu instid0(VALU_DEP_4) | instskip(NEXT) | instid1(VALU_DEP_4)
	v_dual_fmamk_f32 v16, v17, 0xbf737871, v2 :: v_dual_fmac_f32 v47, v154, v20
	v_fmac_f32_e32 v50, v156, v85
	v_sub_f32_e32 v20, v91, v90
	v_sub_f32_e32 v19, v92, v22
	v_dual_add_f32 v21, v87, v91 :: v_dual_fmac_f32 v2, 0x3f737871, v17
	v_fma_f32 v51, v158, v41, -v24
	s_delay_alu instid0(VALU_DEP_4) | instskip(NEXT) | instid1(VALU_DEP_4)
	v_dual_add_f32 v26, v18, v20 :: v_dual_add_f32 v3, v3, v90
	v_fmac_f32_e32 v16, 0xbf167918, v19
	s_delay_alu instid0(VALU_DEP_4) | instskip(SKIP_1) | instid1(VALU_DEP_4)
	v_fma_f32 v12, -0.5, v21, v12
	v_dual_sub_f32 v21, v90, v91 :: v_dual_add_f32 v24, v13, v88
	v_dual_add_f32 v20, v3, v91 :: v_dual_add_f32 v27, v92, v22
	s_delay_alu instid0(VALU_DEP_4) | instskip(NEXT) | instid1(VALU_DEP_4)
	v_dual_fmac_f32 v16, 0x3e9e377a, v26 :: v_dual_sub_f32 v3, v89, v87
	v_fmamk_f32 v18, v19, 0x3f737871, v12
	v_fmac_f32_e32 v2, 0x3f167918, v19
	v_fmac_f32_e32 v12, 0xbf737871, v19
	v_sub_f32_e32 v30, v23, v22
	v_add_f32_e32 v21, v3, v21
	v_fma_f32 v3, -0.5, v27, v13
	v_dual_sub_f32 v27, v87, v91 :: v_dual_fmac_f32 v18, 0xbf167918, v17
	v_add_f32_e32 v19, v24, v92
	v_dual_add_f32 v24, v88, v23 :: v_dual_sub_f32 v31, v95, v33
	v_add_f32_e32 v37, v96, v32
	s_delay_alu instid0(VALU_DEP_3)
	v_dual_sub_f32 v38, v33, v32 :: v_dual_add_f32 v19, v19, v22
	v_fmac_f32_e32 v2, 0x3e9e377a, v26
	v_sub_f32_e32 v26, v89, v90
	v_fmac_f32_e32 v12, 0x3f167918, v17
	v_fmamk_f32 v17, v27, 0x3f737871, v3
	v_fma_f32 v13, -0.5, v24, v13
	v_dual_fmac_f32 v3, 0xbf737871, v27 :: v_dual_sub_f32 v28, v88, v92
	s_delay_alu instid0(VALU_DEP_3) | instskip(SKIP_1) | instid1(VALU_DEP_3)
	v_dual_sub_f32 v22, v22, v23 :: v_dual_fmac_f32 v17, 0x3f167918, v26
	v_sub_f32_e32 v39, v35, v99
	v_fmac_f32_e32 v3, 0xbf167918, v26
	s_delay_alu instid0(VALU_DEP_4)
	v_add_f32_e32 v24, v28, v30
	v_fmac_f32_e32 v18, 0x3e9e377a, v21
	v_dual_fmac_f32 v12, 0x3e9e377a, v21 :: v_dual_add_f32 v21, v19, v23
	v_dual_fmamk_f32 v19, v26, 0xbf737871, v13 :: v_dual_sub_f32 v28, v92, v88
	v_fmac_f32_e32 v13, 0x3f737871, v26
	v_dual_add_f32 v23, v94, v29 :: v_dual_add_f32 v40, v97, v35
	s_delay_alu instid0(VALU_DEP_3) | instskip(NEXT) | instid1(VALU_DEP_3)
	v_dual_fmac_f32 v19, 0x3f167918, v27 :: v_dual_add_f32 v28, v28, v22
	v_dual_fmac_f32 v13, 0xbf167918, v27 :: v_dual_add_f32 v30, v14, v93
	s_delay_alu instid0(VALU_DEP_3) | instskip(SKIP_1) | instid1(VALU_DEP_4)
	v_fma_f32 v22, -0.5, v23, v14
	v_fmac_f32_e32 v17, 0x3e9e377a, v24
	v_fmac_f32_e32 v19, 0x3e9e377a, v28
	;; [unrolled: 1-line block ×3, first 2 shown]
	s_delay_alu instid0(VALU_DEP_4) | instskip(SKIP_3) | instid1(VALU_DEP_4)
	v_dual_add_f32 v23, v30, v94 :: v_dual_fmamk_f32 v24, v31, 0xbf737871, v22
	v_sub_f32_e32 v30, v96, v32
	v_sub_f32_e32 v26, v93, v94
	v_dual_sub_f32 v34, v25, v29 :: v_dual_fmac_f32 v13, 0x3e9e377a, v28
	v_add_f32_e32 v23, v23, v29
	v_add_f32_e32 v36, v93, v25
	v_fmac_f32_e32 v24, 0xbf167918, v30
	s_delay_alu instid0(VALU_DEP_4) | instskip(NEXT) | instid1(VALU_DEP_4)
	v_dual_add_f32 v27, v26, v34 :: v_dual_fmac_f32 v22, 0x3f737871, v31
	v_add_f32_e32 v28, v23, v25
	s_delay_alu instid0(VALU_DEP_4)
	v_fma_f32 v14, -0.5, v36, v14
	v_sub_f32_e32 v23, v94, v93
	v_sub_f32_e32 v34, v29, v25
	v_add_f32_e32 v36, v15, v95
	v_fmac_f32_e32 v22, 0x3f167918, v30
	v_dual_fmac_f32 v24, 0x3e9e377a, v27 :: v_dual_add_f32 v41, v101, v102
	s_delay_alu instid0(VALU_DEP_4)
	v_add_f32_e32 v34, v23, v34
	v_fma_f32 v23, -0.5, v37, v15
	v_fmamk_f32 v26, v30, 0x3f737871, v14
	v_fmac_f32_e32 v14, 0xbf737871, v30
	v_add_f32_e32 v30, v36, v96
	v_sub_f32_e32 v36, v93, v25
	v_dual_fmac_f32 v22, 0x3e9e377a, v27 :: v_dual_sub_f32 v37, v95, v96
	v_sub_f32_e32 v71, v104, v102
	s_delay_alu instid0(VALU_DEP_4) | instskip(NEXT) | instid1(VALU_DEP_4)
	v_add_f32_e32 v27, v30, v32
	v_fmamk_f32 v25, v36, 0x3f737871, v23
	v_dual_fmac_f32 v23, 0xbf737871, v36 :: v_dual_add_f32 v30, v95, v33
	v_fmac_f32_e32 v14, 0x3f167918, v31
	v_dual_sub_f32 v32, v32, v33 :: v_dual_add_f32 v73, v10, v103
	v_dual_sub_f32 v75, v106, v105 :: v_dual_add_f32 v76, v103, v106
	s_delay_alu instid0(VALU_DEP_4) | instskip(SKIP_4) | instid1(VALU_DEP_4)
	v_dual_fmac_f32 v15, -0.5, v30 :: v_dual_sub_f32 v30, v96, v95
	v_dual_fmac_f32 v26, 0xbf167918, v31 :: v_dual_sub_f32 v31, v94, v29
	v_add_f32_e32 v29, v27, v33
	v_dual_add_f32 v33, v98, v99 :: v_dual_sub_f32 v74, v107, v108
	v_add_f32_e32 v77, v107, v108
	v_fmac_f32_e32 v25, 0x3f167918, v31
	v_fmac_f32_e32 v26, 0x3e9e377a, v34
	v_fmac_f32_e32 v14, 0x3e9e377a, v34
	v_dual_add_f32 v34, v37, v38 :: v_dual_fmamk_f32 v27, v31, 0xbf737871, v15
	v_fmac_f32_e32 v15, 0x3f737871, v31
	v_dual_fmac_f32 v23, 0xbf167918, v31 :: v_dual_sub_f32 v78, v109, v108
	s_delay_alu instid0(VALU_DEP_3) | instskip(NEXT) | instid1(VALU_DEP_4)
	v_fmac_f32_e32 v25, 0x3e9e377a, v34
	v_fmac_f32_e32 v27, 0x3f167918, v36
	s_delay_alu instid0(VALU_DEP_4) | instskip(SKIP_4) | instid1(VALU_DEP_4)
	v_fmac_f32_e32 v15, 0xbf167918, v36
	v_dual_add_f32 v37, v30, v32 :: v_dual_add_f32 v32, v8, v97
	v_fma_f32 v30, -0.5, v33, v8
	v_sub_f32_e32 v33, v100, v104
	v_fmac_f32_e32 v23, 0x3e9e377a, v34
	v_dual_sub_f32 v34, v97, v98 :: v_dual_fmac_f32 v15, 0x3e9e377a, v37
	s_delay_alu instid0(VALU_DEP_3) | instskip(NEXT) | instid1(VALU_DEP_2)
	v_dual_add_f32 v31, v32, v98 :: v_dual_fmamk_f32 v32, v33, 0xbf737871, v30
	v_dual_sub_f32 v38, v101, v102 :: v_dual_add_f32 v39, v34, v39
	v_fmac_f32_e32 v27, 0x3e9e377a, v37
	s_delay_alu instid0(VALU_DEP_3) | instskip(NEXT) | instid1(VALU_DEP_3)
	v_dual_add_f32 v31, v31, v99 :: v_dual_fmac_f32 v30, 0x3f737871, v33
	v_dual_fmac_f32 v32, 0xbf167918, v38 :: v_dual_sub_f32 v37, v99, v35
	v_add_f32_e32 v79, v4, v67
	s_delay_alu instid0(VALU_DEP_3) | instskip(SKIP_1) | instid1(VALU_DEP_4)
	v_dual_add_f32 v34, v31, v35 :: v_dual_sub_f32 v31, v98, v97
	v_fma_f32 v8, -0.5, v40, v8
	v_fmac_f32_e32 v32, 0x3e9e377a, v39
	v_add_f32_e32 v40, v9, v100
	v_add_f32_e32 v82, v67, v68
	;; [unrolled: 1-line block ×3, first 2 shown]
	v_fma_f32 v31, -0.5, v41, v9
	v_dual_sub_f32 v41, v97, v35 :: v_dual_fmac_f32 v30, 0x3f167918, v38
	v_fmamk_f32 v36, v38, 0x3f737871, v8
	v_fmac_f32_e32 v8, 0xbf737871, v38
	v_dual_sub_f32 v80, v62, v65 :: v_dual_sub_f32 v81, v68, v64
	s_delay_alu instid0(VALU_DEP_4)
	v_fmac_f32_e32 v30, 0x3e9e377a, v39
	v_dual_sub_f32 v39, v98, v99 :: v_dual_add_f32 v38, v40, v101
	v_fmac_f32_e32 v36, 0xbf167918, v33
	ds_store_b64 v255, v[20:21]
	ds_store_b64 v254, v[16:17] offset:952
	ds_store_b64 v254, v[18:19] offset:1904
	;; [unrolled: 1-line block ×5, first 2 shown]
	v_add_nc_u32_e32 v12, 0x198, v255
	v_add_nc_u32_e32 v3, 0x110, v255
	v_dual_add_f32 v35, v38, v102 :: v_dual_add_f32 v38, v100, v104
	s_delay_alu instid0(VALU_DEP_1) | instskip(NEXT) | instid1(VALU_DEP_2)
	v_dual_add_f32 v35, v35, v104 :: v_dual_add_nc_u32 v2, 0x800, v3
	v_fma_f32 v9, -0.5, v38, v9
	v_sub_f32_e32 v40, v100, v101
	v_sub_f32_e32 v38, v101, v100
	s_delay_alu instid0(VALU_DEP_2) | instskip(SKIP_3) | instid1(VALU_DEP_2)
	v_dual_add_f32 v40, v40, v71 :: v_dual_sub_f32 v71, v102, v104
	v_fmac_f32_e32 v8, 0x3f167918, v33
	v_fmamk_f32 v33, v41, 0x3f737871, v31
	v_fmac_f32_e32 v31, 0xbf737871, v41
	v_fmac_f32_e32 v33, 0x3f167918, v39
	v_fmac_f32_e32 v36, 0x3e9e377a, v37
	s_delay_alu instid0(VALU_DEP_3) | instskip(SKIP_3) | instid1(VALU_DEP_2)
	v_fmac_f32_e32 v31, 0xbf167918, v39
	v_dual_add_f32 v71, v38, v71 :: v_dual_fmac_f32 v8, 0x3e9e377a, v37
	v_fmamk_f32 v37, v39, 0xbf737871, v9
	v_fmac_f32_e32 v9, 0x3f737871, v39
	v_fmac_f32_e32 v37, 0x3f167918, v41
	v_dual_add_f32 v72, v70, v105 :: v_dual_fmac_f32 v31, 0x3e9e377a, v40
	v_fmac_f32_e32 v33, 0x3e9e377a, v40
	s_delay_alu instid0(VALU_DEP_3) | instskip(NEXT) | instid1(VALU_DEP_3)
	v_fmac_f32_e32 v37, 0x3e9e377a, v71
	v_fma_f32 v38, -0.5, v72, v10
	v_sub_f32_e32 v72, v69, v109
	v_add_f32_e32 v39, v73, v70
	v_sub_f32_e32 v73, v103, v70
	v_fma_f32 v10, -0.5, v76, v10
	v_add_f32_e32 v76, v11, v69
	v_fmamk_f32 v40, v72, 0xbf737871, v38
	v_fmac_f32_e32 v38, 0x3f737871, v72
	v_fmac_f32_e32 v9, 0xbf167918, v41
	v_add_f32_e32 v39, v39, v105
	s_delay_alu instid0(VALU_DEP_4) | instskip(SKIP_1) | instid1(VALU_DEP_4)
	v_dual_add_f32 v41, v73, v75 :: v_dual_fmac_f32 v40, 0xbf167918, v74
	v_fmamk_f32 v73, v74, 0x3f737871, v10
	v_fmac_f32_e32 v9, 0x3e9e377a, v71
	v_fmac_f32_e32 v38, 0x3f167918, v74
	v_add_f32_e32 v71, v39, v106
	v_dual_sub_f32 v39, v70, v103 :: v_dual_fmac_f32 v10, 0xbf737871, v74
	s_delay_alu instid0(VALU_DEP_3) | instskip(SKIP_2) | instid1(VALU_DEP_3)
	v_dual_sub_f32 v75, v105, v106 :: v_dual_fmac_f32 v38, 0x3e9e377a, v41
	v_add_f32_e32 v74, v76, v107
	v_dual_sub_f32 v76, v103, v106 :: v_dual_fmac_f32 v73, 0xbf167918, v72
	v_dual_sub_f32 v70, v70, v105 :: v_dual_add_f32 v75, v39, v75
	v_fmac_f32_e32 v10, 0x3f167918, v72
	s_delay_alu instid0(VALU_DEP_4) | instskip(SKIP_3) | instid1(VALU_DEP_4)
	v_add_f32_e32 v72, v74, v108
	v_add_f32_e32 v74, v69, v109
	v_fma_f32 v39, -0.5, v77, v11
	v_dual_fmac_f32 v73, 0x3e9e377a, v75 :: v_dual_fmac_f32 v40, 0x3e9e377a, v41
	v_dual_sub_f32 v77, v69, v107 :: v_dual_add_f32 v72, v72, v109
	s_delay_alu instid0(VALU_DEP_3) | instskip(SKIP_1) | instid1(VALU_DEP_3)
	v_fmamk_f32 v41, v76, 0x3f737871, v39
	v_dual_fmac_f32 v10, 0x3e9e377a, v75 :: v_dual_fmac_f32 v11, -0.5, v74
	v_add_f32_e32 v75, v77, v78
	v_sub_f32_e32 v77, v108, v109
	s_delay_alu instid0(VALU_DEP_4) | instskip(NEXT) | instid1(VALU_DEP_4)
	v_dual_fmac_f32 v41, 0x3f167918, v70 :: v_dual_add_f32 v78, v63, v64
	v_dual_fmamk_f32 v74, v70, 0xbf737871, v11 :: v_dual_sub_f32 v69, v107, v69
	v_fmac_f32_e32 v39, 0xbf737871, v76
	v_fmac_f32_e32 v11, 0x3f737871, v70
	ds_store_b64 v254, v[24:25] offset:1088
	ds_store_b64 v254, v[26:27] offset:2040
	ds_store_b64 v254, v[14:15] offset:2992
	ds_store_b64 v254, v[22:23] offset:3944
	ds_store_2addr_b64 v3, v[32:33], v[36:37] offset0:119 offset1:238
	v_dual_fmac_f32 v74, 0x3f167918, v76 :: v_dual_add_f32 v77, v69, v77
	v_fma_f32 v69, -0.5, v78, v4
	v_sub_f32_e32 v78, v61, v66
	v_dual_fmac_f32 v39, 0xbf167918, v70 :: v_dual_add_f32 v70, v79, v63
	v_fma_f32 v4, -0.5, v82, v4
	v_sub_f32_e32 v79, v67, v63
	v_fmac_f32_e32 v11, 0xbf167918, v76
	s_delay_alu instid0(VALU_DEP_4) | instskip(SKIP_1) | instid1(VALU_DEP_4)
	v_dual_fmac_f32 v39, 0x3e9e377a, v75 :: v_dual_add_f32 v70, v70, v64
	v_dual_fmac_f32 v41, 0x3e9e377a, v75 :: v_dual_fmac_f32 v74, 0x3e9e377a, v77
	v_dual_add_f32 v76, v79, v81 :: v_dual_fmamk_f32 v79, v80, 0x3f737871, v4
	v_fmac_f32_e32 v4, 0xbf737871, v80
	v_fmac_f32_e32 v11, 0x3e9e377a, v77
	v_dual_add_f32 v77, v70, v68 :: v_dual_sub_f32 v70, v63, v67
	v_dual_fmamk_f32 v75, v78, 0xbf737871, v69 :: v_dual_add_f32 v82, v5, v61
	s_delay_alu instid0(VALU_DEP_4)
	v_dual_fmac_f32 v4, 0x3f167918, v78 :: v_dual_sub_f32 v67, v67, v68
	v_sub_f32_e32 v63, v63, v64
	v_dual_sub_f32 v81, v64, v68 :: v_dual_sub_f32 v64, v61, v62
	v_add_f32_e32 v83, v62, v65
	v_fmac_f32_e32 v75, 0xbf167918, v80
	v_fmac_f32_e32 v79, 0xbf167918, v78
	s_delay_alu instid0(VALU_DEP_4)
	v_add_f32_e32 v81, v70, v81
	ds_store_2addr_b64 v2, v[8:9], v[30:31] offset0:101 offset1:220
	ds_store_2addr_b64 v255, v[34:35], v[71:72] offset0:34 offset1:51
	v_fma_f32 v70, -0.5, v83, v5
	v_fmac_f32_e32 v69, 0x3f737871, v78
	v_dual_add_f32 v78, v61, v66 :: v_dual_fmac_f32 v75, 0x3e9e377a, v76
	v_dual_sub_f32 v61, v62, v61 :: v_dual_add_nc_u32 v8, 0x220, v255
	s_delay_alu instid0(VALU_DEP_3) | instskip(NEXT) | instid1(VALU_DEP_3)
	v_dual_fmac_f32 v69, 0x3f167918, v80 :: v_dual_add_f32 v80, v82, v62
	v_fma_f32 v5, -0.5, v78, v5
	v_dual_sub_f32 v62, v65, v66 :: v_dual_add_nc_u32 v3, 0x800, v12
	s_delay_alu instid0(VALU_DEP_4) | instskip(NEXT) | instid1(VALU_DEP_4)
	v_add_nc_u32_e32 v2, 0x800, v8
	v_add_f32_e32 v68, v80, v65
	v_sub_f32_e32 v80, v66, v65
	s_delay_alu instid0(VALU_DEP_4) | instskip(NEXT) | instid1(VALU_DEP_3)
	v_dual_add_f32 v65, v55, v57 :: v_dual_add_f32 v62, v61, v62
	v_add_f32_e32 v78, v68, v66
	v_dual_add_f32 v66, v6, v58 :: v_dual_fmac_f32 v69, 0x3e9e377a, v76
	v_fmamk_f32 v76, v67, 0x3f737871, v70
	v_add_f32_e32 v64, v64, v80
	v_fmac_f32_e32 v70, 0xbf737871, v67
	v_fmamk_f32 v80, v63, 0xbf737871, v5
	v_fmac_f32_e32 v4, 0x3e9e377a, v81
	v_fma_f32 v61, -0.5, v65, v6
	v_sub_f32_e32 v68, v53, v59
	v_sub_f32_e32 v65, v58, v55
	v_fmac_f32_e32 v80, 0x3f167918, v67
	v_fmac_f32_e32 v76, 0x3f167918, v63
	;; [unrolled: 1-line block ×5, first 2 shown]
	s_delay_alu instid0(VALU_DEP_4) | instskip(NEXT) | instid1(VALU_DEP_4)
	v_dual_sub_f32 v81, v60, v57 :: v_dual_fmac_f32 v76, 0x3e9e377a, v64
	v_fmac_f32_e32 v70, 0x3e9e377a, v64
	v_dual_add_f32 v64, v66, v55 :: v_dual_fmamk_f32 v63, v68, 0xbf737871, v61
	v_sub_f32_e32 v66, v54, v56
	v_dual_add_f32 v82, v58, v60 :: v_dual_fmac_f32 v5, 0xbf167918, v67
	s_delay_alu instid0(VALU_DEP_3) | instskip(SKIP_1) | instid1(VALU_DEP_4)
	v_dual_add_f32 v64, v64, v57 :: v_dual_fmac_f32 v61, 0x3f737871, v68
	v_dual_fmac_f32 v80, 0x3e9e377a, v62 :: v_dual_add_f32 v81, v65, v81
	v_fmac_f32_e32 v63, 0xbf167918, v66
	s_delay_alu instid0(VALU_DEP_4)
	v_fma_f32 v6, -0.5, v82, v6
	v_fmac_f32_e32 v5, 0x3e9e377a, v62
	v_dual_add_f32 v65, v64, v60 :: v_dual_sub_f32 v62, v55, v58
	v_sub_f32_e32 v64, v57, v60
	v_dual_add_f32 v82, v7, v53 :: v_dual_fmac_f32 v61, 0x3f167918, v66
	v_dual_sub_f32 v58, v58, v60 :: v_dual_fmac_f32 v63, 0x3e9e377a, v81
	s_delay_alu instid0(VALU_DEP_3) | instskip(SKIP_1) | instid1(VALU_DEP_4)
	v_add_f32_e32 v84, v62, v64
	v_add_f32_e32 v83, v54, v56
	v_dual_add_f32 v64, v82, v54 :: v_dual_fmac_f32 v61, 0x3e9e377a, v81
	v_fmamk_f32 v67, v66, 0x3f737871, v6
	v_fmac_f32_e32 v6, 0xbf737871, v66
	s_delay_alu instid0(VALU_DEP_4) | instskip(NEXT) | instid1(VALU_DEP_4)
	v_fma_f32 v62, -0.5, v83, v7
	v_add_f32_e32 v60, v64, v56
	s_delay_alu instid0(VALU_DEP_4) | instskip(NEXT) | instid1(VALU_DEP_4)
	v_dual_add_f32 v66, v53, v59 :: v_dual_fmac_f32 v67, 0xbf167918, v68
	v_dual_fmac_f32 v6, 0x3f167918, v68 :: v_dual_sub_f32 v55, v55, v57
	s_delay_alu instid0(VALU_DEP_4) | instskip(NEXT) | instid1(VALU_DEP_3)
	v_dual_fmamk_f32 v64, v58, 0x3f737871, v62 :: v_dual_sub_f32 v57, v53, v54
	v_dual_sub_f32 v68, v59, v56 :: v_dual_fmac_f32 v7, -0.5, v66
	v_fmac_f32_e32 v62, 0xbf737871, v58
	s_delay_alu instid0(VALU_DEP_3) | instskip(NEXT) | instid1(VALU_DEP_3)
	v_dual_fmac_f32 v64, 0x3f167918, v55 :: v_dual_add_f32 v81, v48, v52
	v_dual_add_f32 v57, v57, v68 :: v_dual_fmamk_f32 v68, v55, 0xbf737871, v7
	s_delay_alu instid0(VALU_DEP_3) | instskip(SKIP_1) | instid1(VALU_DEP_3)
	v_fmac_f32_e32 v62, 0xbf167918, v55
	v_fmac_f32_e32 v7, 0x3f737871, v55
	v_dual_add_f32 v55, v0, v48 :: v_dual_fmac_f32 v64, 0x3e9e377a, v57
	v_dual_fmac_f32 v6, 0x3e9e377a, v84 :: v_dual_sub_f32 v53, v54, v53
	s_delay_alu instid0(VALU_DEP_2) | instskip(NEXT) | instid1(VALU_DEP_4)
	v_dual_fmac_f32 v62, 0x3e9e377a, v57 :: v_dual_add_f32 v57, v55, v47
	v_dual_sub_f32 v54, v56, v59 :: v_dual_fmac_f32 v7, 0xbf167918, v58
	v_dual_fmac_f32 v67, 0x3e9e377a, v84 :: v_dual_add_f32 v66, v60, v59
	s_delay_alu instid0(VALU_DEP_3) | instskip(SKIP_1) | instid1(VALU_DEP_4)
	v_add_f32_e32 v57, v57, v50
	v_add_f32_e32 v56, v47, v50
	v_dual_add_f32 v54, v53, v54 :: v_dual_sub_f32 v59, v48, v47
	ds_store_2addr_b64 v12, v[40:41], v[73:74] offset0:119 offset1:238
	ds_store_2addr_b64 v3, v[10:11], v[38:39] offset0:101 offset1:220
	;; [unrolled: 1-line block ×3, first 2 shown]
	v_add_f32_e32 v57, v57, v52
	v_fma_f32 v53, -0.5, v56, v0
	v_sub_f32_e32 v60, v52, v50
	v_fmac_f32_e32 v68, 0x3f167918, v58
	v_sub_f32_e32 v58, v46, v49
	v_sub_f32_e32 v56, v45, v51
	v_fma_f32 v0, -0.5, v81, v0
	v_dual_sub_f32 v81, v50, v52 :: v_dual_add_nc_u32 v8, 0x2a8, v255
	ds_store_2addr_b64 v2, v[4:5], v[69:70] offset0:101 offset1:220
	ds_store_2addr_b64 v255, v[77:78], v[65:66] offset0:68 offset1:85
	v_fmamk_f32 v55, v56, 0xbf737871, v53
	v_fmac_f32_e32 v7, 0x3e9e377a, v54
	v_add_nc_u32_e32 v4, 0x330, v255
	v_add_nc_u32_e32 v3, 0x800, v8
	s_delay_alu instid0(VALU_DEP_4) | instskip(SKIP_3) | instid1(VALU_DEP_3)
	v_fmac_f32_e32 v55, 0xbf167918, v58
	v_fmac_f32_e32 v53, 0x3f737871, v56
	v_dual_add_f32 v59, v59, v60 :: v_dual_fmac_f32 v68, 0x3e9e377a, v54
	v_add_f32_e32 v54, v46, v49
	v_dual_sub_f32 v60, v47, v48 :: v_dual_fmac_f32 v53, 0x3f167918, v58
	s_delay_alu instid0(VALU_DEP_3) | instskip(NEXT) | instid1(VALU_DEP_3)
	v_dual_fmac_f32 v55, 0x3e9e377a, v59 :: v_dual_sub_f32 v48, v48, v52
	v_fma_f32 v54, -0.5, v54, v1
	v_sub_f32_e32 v47, v47, v50
	s_delay_alu instid0(VALU_DEP_4) | instskip(SKIP_4) | instid1(VALU_DEP_4)
	v_fmac_f32_e32 v53, 0x3e9e377a, v59
	v_fmamk_f32 v59, v58, 0x3f737871, v0
	v_fmac_f32_e32 v0, 0xbf737871, v58
	v_add_f32_e32 v58, v1, v45
	v_add_f32_e32 v52, v60, v81
	v_dual_add_f32 v60, v45, v51 :: v_dual_fmac_f32 v59, 0xbf167918, v56
	s_delay_alu instid0(VALU_DEP_4) | instskip(NEXT) | instid1(VALU_DEP_4)
	v_fmac_f32_e32 v0, 0x3f167918, v56
	v_add_f32_e32 v58, v58, v46
	v_add_nc_u32_e32 v2, 0x800, v4
	s_delay_alu instid0(VALU_DEP_2)
	v_dual_fmac_f32 v59, 0x3e9e377a, v52 :: v_dual_add_f32 v50, v58, v49
	v_sub_f32_e32 v58, v51, v49
	v_fmac_f32_e32 v0, 0x3e9e377a, v52
	v_dual_sub_f32 v52, v45, v46 :: v_dual_sub_f32 v45, v46, v45
	v_dual_fmamk_f32 v56, v48, 0x3f737871, v54 :: v_dual_fmac_f32 v1, -0.5, v60
	v_fmac_f32_e32 v54, 0xbf737871, v48
	s_delay_alu instid0(VALU_DEP_2) | instskip(SKIP_1) | instid1(VALU_DEP_3)
	v_fmamk_f32 v60, v47, 0xbf737871, v1
	v_fmac_f32_e32 v1, 0x3f737871, v47
	v_fmac_f32_e32 v54, 0xbf167918, v47
	s_delay_alu instid0(VALU_DEP_3) | instskip(NEXT) | instid1(VALU_DEP_3)
	v_fmac_f32_e32 v60, 0x3f167918, v48
	v_dual_fmac_f32 v1, 0xbf167918, v48 :: v_dual_sub_f32 v46, v49, v51
	v_dual_add_f32 v49, v52, v58 :: v_dual_add_f32 v58, v50, v51
	s_delay_alu instid0(VALU_DEP_2) | instskip(NEXT) | instid1(VALU_DEP_2)
	v_dual_fmac_f32 v56, 0x3f167918, v47 :: v_dual_add_f32 v45, v45, v46
	v_fmac_f32_e32 v54, 0x3e9e377a, v49
	s_delay_alu instid0(VALU_DEP_2) | instskip(NEXT) | instid1(VALU_DEP_3)
	v_fmac_f32_e32 v56, 0x3e9e377a, v49
	v_fmac_f32_e32 v60, 0x3e9e377a, v45
	;; [unrolled: 1-line block ×3, first 2 shown]
	ds_store_2addr_b64 v8, v[63:64], v[67:68] offset0:119 offset1:238
	ds_store_2addr_b64 v3, v[6:7], v[61:62] offset0:101 offset1:220
	ds_store_b64 v255, v[57:58] offset:816
	ds_store_2addr_b64 v4, v[55:56], v[59:60] offset0:119 offset1:238
	ds_store_2addr_b64 v2, v[0:1], v[53:54] offset0:101 offset1:220
	s_waitcnt lgkmcnt(0)
	s_barrier
	buffer_gl0_inv
	ds_load_2addr_b64 v[12:15], v255 offset1:17
	ds_load_2addr_b64 v[8:11], v255 offset0:68 offset1:85
	ds_load_2addr_b64 v[16:19], v255 offset0:170 offset1:187
	s_clause 0x7
	scratch_load_b64 v[2:3], off, off offset:288
	scratch_load_b64 v[4:5], off, off offset:280
	;; [unrolled: 1-line block ×6, first 2 shown]
	scratch_load_b32 v41, off, off
	scratch_load_b64 v[55:56], off, off offset:216
	s_waitcnt vmcnt(7) lgkmcnt(2)
	v_mul_f32_e32 v0, v3, v13
	v_mul_f32_e32 v1, v3, v12
	s_waitcnt vmcnt(6) lgkmcnt(1)
	s_delay_alu instid0(VALU_DEP_2) | instskip(NEXT) | instid1(VALU_DEP_2)
	v_dual_mul_f32 v3, v5, v10 :: v_dual_fmac_f32 v0, v2, v12
	v_fma_f32 v1, v2, v13, -v1
	v_mul_f32_e32 v2, v5, v11
	s_waitcnt vmcnt(1)
	v_mad_u64_u32 v[32:33], null, s4, v41, 0
	v_cvt_f64_f32_e32 v[20:21], v0
	v_fma_f32 v0, v4, v11, -v3
	v_fmac_f32_e32 v2, v4, v10
	scratch_load_b64 v[4:5], off, off offset:272 ; 8-byte Folded Reload
	v_cvt_f64_f32_e32 v[22:23], v1
	ds_load_2addr_b64 v[10:13], v42 offset0:84 offset1:101
	v_cvt_f64_f32_e32 v[26:27], v0
	v_cvt_f64_f32_e32 v[24:25], v2
	s_waitcnt vmcnt(1)
	v_mul_f32_e32 v54, v56, v15
	s_delay_alu instid0(VALU_DEP_1) | instskip(SKIP_1) | instid1(VALU_DEP_1)
	v_fmac_f32_e32 v54, v55, v14
	v_mul_f32_e32 v14, v56, v14
	v_fma_f32 v14, v55, v15, -v14
	v_mul_f64 v[37:38], v[22:23], s[0:1]
	v_mul_f64 v[24:25], v[24:25], s[0:1]
	s_waitcnt vmcnt(0) lgkmcnt(1)
	v_mul_f32_e32 v1, v5, v17
	v_mul_f32_e32 v3, v5, v16
	s_delay_alu instid0(VALU_DEP_2) | instskip(NEXT) | instid1(VALU_DEP_2)
	v_fmac_f32_e32 v1, v4, v16
	v_fma_f32 v0, v4, v17, -v3
	s_delay_alu instid0(VALU_DEP_2) | instskip(NEXT) | instid1(VALU_DEP_2)
	v_cvt_f64_f32_e32 v[16:17], v1
	v_cvt_f64_f32_e32 v[28:29], v0
	scratch_load_b64 v[0:1], off, off offset:160 ; 8-byte Folded Reload
	v_mul_f64 v[16:17], v[16:17], s[0:1]
	v_mul_f64 v[28:29], v[28:29], s[0:1]
	s_delay_alu instid0(VALU_DEP_2) | instskip(NEXT) | instid1(VALU_DEP_2)
	v_cvt_f32_f64_e32 v16, v[16:17]
	v_cvt_f32_f64_e32 v17, v[28:29]
	s_waitcnt vmcnt(0)
	v_mov_b32_e32 v5, v0
	ds_load_2addr_b64 v[0:3], v255 offset0:238 offset1:255
	v_mul_f32_e32 v58, v60, v19
	v_mad_u64_u32 v[30:31], null, s6, v5, 0
	s_delay_alu instid0(VALU_DEP_2) | instskip(SKIP_1) | instid1(SALU_CYCLE_1)
	v_fmac_f32_e32 v58, v59, v18
	s_mul_hi_u32 s6, s4, 0xfffff098
	s_sub_i32 s6, s6, s4
	s_delay_alu instid0(VALU_DEP_2) | instskip(NEXT) | instid1(VALU_DEP_1)
	v_mov_b32_e32 v4, v31
	v_mad_u64_u32 v[34:35], null, s7, v5, v[4:5]
	v_mul_f64 v[35:36], v[20:21], s[0:1]
	ds_load_2addr_b64 v[20:23], v44 offset0:126 offset1:143
	ds_load_2addr_b64 v[4:7], v42 offset0:152 offset1:169
	s_mul_i32 s7, s5, 0xfffff098
	s_delay_alu instid0(SALU_CYCLE_1) | instskip(SKIP_3) | instid1(VALU_DEP_1)
	s_add_i32 s6, s6, s7
	s_waitcnt lgkmcnt(2)
	v_dual_mov_b32 v31, v34 :: v_dual_mul_f32 v34, v47, v3
	s_mul_i32 s7, s4, 0xfffff098
	v_mad_u64_u32 v[39:40], null, s5, v41, v[33:34]
	v_fmac_f32_e32 v34, v46, v2
	v_mul_f64 v[40:41], v[26:27], s[0:1]
	v_mul_f32_e32 v2, v47, v2
	v_mul_f32_e32 v26, v51, v11
	s_delay_alu instid0(VALU_DEP_4) | instskip(SKIP_4) | instid1(VALU_DEP_3)
	v_cvt_f64_f32_e32 v[44:45], v34
	scratch_load_b64 v[33:34], off, off offset:264 ; 8-byte Folded Reload
	v_fma_f32 v2, v46, v3, -v2
	v_fmac_f32_e32 v26, v50, v10
	v_mul_f32_e32 v3, v51, v10
	v_cvt_f64_f32_e32 v[46:47], v2
	s_delay_alu instid0(VALU_DEP_3) | instskip(NEXT) | instid1(VALU_DEP_3)
	v_cvt_f64_f32_e32 v[48:49], v26
	v_fma_f32 v2, v50, v11, -v3
	s_waitcnt vmcnt(0) lgkmcnt(0)
	v_mul_f32_e32 v10, v34, v7
	v_mul_f32_e32 v27, v34, v6
	s_delay_alu instid0(VALU_DEP_2) | instskip(NEXT) | instid1(VALU_DEP_2)
	v_fmac_f32_e32 v10, v33, v6
	v_fma_f32 v3, v33, v7, -v27
	scratch_load_b64 v[33:34], off, off offset:240 ; 8-byte Folded Reload
	v_cvt_f64_f32_e32 v[6:7], v2
	v_cvt_f64_f32_e32 v[10:11], v10
	;; [unrolled: 1-line block ×3, first 2 shown]
	v_lshlrev_b64 v[2:3], 3, v[30:31]
	ds_load_2addr_b64 v[28:31], v42 offset0:16 offset1:33
	v_add_co_u32 v2, vcc_lo, s2, v2
	v_add_co_ci_u32_e32 v3, vcc_lo, s3, v3, vcc_lo
	s_mul_i32 s2, s5, 0x2a8
	s_mul_hi_u32 s3, s4, 0x2a8
	s_delay_alu instid0(SALU_CYCLE_1) | instskip(SKIP_3) | instid1(VALU_DEP_1)
	s_add_i32 s2, s3, s2
	s_mul_i32 s3, s4, 0x2a8
	v_mul_f64 v[6:7], v[6:7], s[0:1]
	v_mul_f64 v[10:11], v[10:11], s[0:1]
	v_cvt_f32_f64_e32 v10, v[10:11]
	s_waitcnt vmcnt(0)
	v_mul_f32_e32 v27, v34, v20
	v_mul_f32_e32 v26, v34, v21
	v_cvt_f32_f64_e32 v34, v[35:36]
	v_cvt_f32_f64_e32 v35, v[37:38]
	;; [unrolled: 1-line block ×3, first 2 shown]
	v_fma_f32 v27, v33, v21, -v27
	v_dual_fmac_f32 v26, v33, v20 :: v_dual_mov_b32 v33, v39
	v_cvt_f32_f64_e32 v37, v[40:41]
	v_mul_f64 v[40:41], v[44:45], s[0:1]
	s_delay_alu instid0(VALU_DEP_4) | instskip(NEXT) | instid1(VALU_DEP_4)
	v_cvt_f64_f32_e32 v[52:53], v27
	v_cvt_f64_f32_e32 v[20:21], v26
	v_lshlrev_b64 v[26:27], 3, v[32:33]
	v_mul_f64 v[44:45], v[46:47], s[0:1]
	v_mul_f64 v[46:47], v[48:49], s[0:1]
	;; [unrolled: 1-line block ×3, first 2 shown]
	s_delay_alu instid0(VALU_DEP_4)
	v_add_co_u32 v32, vcc_lo, v2, v26
	v_add_co_ci_u32_e32 v33, vcc_lo, v3, v27, vcc_lo
	ds_load_2addr_b64 v[24:27], v255 offset0:102 offset1:119
	v_add_co_u32 v38, vcc_lo, v32, s3
	v_add_co_ci_u32_e32 v39, vcc_lo, s2, v33, vcc_lo
	s_waitcnt lgkmcnt(0)
	v_mul_f32_e32 v56, v62, v25
	v_mul_f32_e32 v15, v62, v24
	scratch_load_b64 v[62:63], off, off offset:232 ; 8-byte Folded Reload
	v_fmac_f32_e32 v56, v61, v24
	v_mul_f32_e32 v24, v60, v18
	v_mul_f64 v[50:51], v[52:53], s[0:1]
	v_cvt_f64_f32_e32 v[52:53], v54
	v_cvt_f64_f32_e32 v[54:55], v14
	v_fma_f32 v14, v61, v25, -v15
	v_fma_f32 v15, v59, v19, -v24
	v_cvt_f64_f32_e32 v[56:57], v56
	v_cvt_f32_f64_e32 v11, v[48:49]
	v_cvt_f64_f32_e32 v[58:59], v58
	v_cvt_f64_f32_e32 v[24:25], v14
	v_add_co_u32 v14, vcc_lo, v38, s3
	v_cvt_f64_f32_e32 v[60:61], v15
	v_add_co_ci_u32_e32 v15, vcc_lo, s2, v39, vcc_lo
	s_clause 0x2
	global_store_b64 v[32:33], v[34:35], off
	global_store_b64 v[38:39], v[36:37], off
	;; [unrolled: 1-line block ×3, first 2 shown]
	scratch_load_b64 v[64:65], off, off offset:184 ; 8-byte Folded Reload
	v_cvt_f32_f64_e32 v36, v[46:47]
	v_add_co_u32 v34, vcc_lo, v14, s3
	v_add_co_ci_u32_e32 v35, vcc_lo, s2, v15, vcc_lo
	ds_load_2addr_b64 v[14:17], v42 offset0:186 offset1:203
	v_cvt_f32_f64_e32 v32, v[40:41]
	v_mul_f64 v[20:21], v[20:21], s[0:1]
	v_cvt_f32_f64_e32 v33, v[44:45]
	v_cvt_f32_f64_e32 v37, v[6:7]
	v_add_co_u32 v6, vcc_lo, v34, s3
	v_add_co_ci_u32_e32 v7, vcc_lo, s2, v35, vcc_lo
	scratch_load_b64 v[68:69], off, off offset:176 ; 8-byte Folded Reload
	v_add_co_u32 v38, vcc_lo, v6, s3
	v_add_co_ci_u32_e32 v39, vcc_lo, s2, v7, vcc_lo
	v_cvt_f32_f64_e32 v41, v[50:51]
	v_mul_f64 v[44:45], v[52:53], s[0:1]
	v_mul_f64 v[46:47], v[54:55], s[0:1]
	;; [unrolled: 1-line block ×6, first 2 shown]
	v_cvt_f32_f64_e32 v40, v[20:21]
	s_waitcnt vmcnt(2)
	v_mul_f32_e32 v19, v63, v28
	v_mul_f32_e32 v18, v63, v29
	s_delay_alu instid0(VALU_DEP_2) | instskip(NEXT) | instid1(VALU_DEP_2)
	v_fma_f32 v19, v62, v29, -v19
	v_fmac_f32_e32 v18, v62, v28
	s_delay_alu instid0(VALU_DEP_2) | instskip(NEXT) | instid1(VALU_DEP_2)
	v_cvt_f64_f32_e32 v[62:63], v19
	v_cvt_f64_f32_e32 v[28:29], v18
	ds_load_2addr_b64 v[18:21], v255 offset0:34 offset1:51
	s_waitcnt vmcnt(1)
	v_mul_f32_e32 v56, v65, v13
	v_mul_f32_e32 v54, v65, v12
	s_delay_alu instid0(VALU_DEP_2) | instskip(NEXT) | instid1(VALU_DEP_2)
	v_fmac_f32_e32 v56, v64, v12
	v_fma_f32 v12, v64, v13, -v54
	scratch_load_b64 v[64:65], off, off offset:168 ; 8-byte Folded Reload
	v_cvt_f64_f32_e32 v[56:57], v56
	v_cvt_f64_f32_e32 v[58:59], v12
	v_mul_f64 v[54:55], v[62:63], s[0:1]
	v_mul_f64 v[28:29], v[28:29], s[0:1]
	s_delay_alu instid0(VALU_DEP_1) | instskip(NEXT) | instid1(VALU_DEP_3)
	v_cvt_f32_f64_e32 v28, v[28:29]
	v_cvt_f32_f64_e32 v29, v[54:55]
	s_waitcnt vmcnt(0) lgkmcnt(1)
	v_mul_f32_e32 v13, v65, v15
	v_mul_f32_e32 v12, v65, v14
	scratch_load_b64 v[65:66], off, off offset:224 ; 8-byte Folded Reload
	s_clause 0x1
	global_store_b64 v[34:35], v[32:33], off
	global_store_b64 v[6:7], v[36:37], off
	;; [unrolled: 1-line block ×3, first 2 shown]
	v_cvt_f32_f64_e32 v35, v[24:25]
	v_fmac_f32_e32 v13, v64, v14
	v_fma_f32 v12, v64, v15, -v12
	v_cvt_f32_f64_e32 v34, v[48:49]
	s_delay_alu instid0(VALU_DEP_3)
	v_cvt_f64_f32_e32 v[60:61], v13
	s_waitcnt vmcnt(0)
	v_mul_f32_e32 v14, v66, v22
	v_mul_f32_e32 v62, v66, v23
	s_waitcnt lgkmcnt(0)
	v_mul_f32_e32 v66, v69, v19
	s_delay_alu instid0(VALU_DEP_3)
	v_fma_f32 v13, v65, v23, -v14
	v_cvt_f64_f32_e32 v[14:15], v12
	v_add_co_u32 v12, vcc_lo, v38, s3
	v_fmac_f32_e32 v62, v65, v22
	v_fmac_f32_e32 v66, v68, v18
	v_mul_f32_e32 v18, v69, v18
	v_cvt_f64_f32_e32 v[64:65], v13
	v_add_co_ci_u32_e32 v13, vcc_lo, s2, v39, vcc_lo
	v_cvt_f64_f32_e32 v[62:63], v62
	s_delay_alu instid0(VALU_DEP_4)
	v_fma_f32 v18, v68, v19, -v18
	v_cvt_f32_f64_e32 v19, v[46:47]
	global_store_b64 v[12:13], v[40:41], off
	v_mul_f64 v[40:41], v[56:57], s[0:1]
	v_mul_f64 v[46:47], v[60:61], s[0:1]
	s_clause 0x1
	scratch_load_b64 v[56:57], off, off offset:136
	scratch_load_b64 v[60:61], off, off offset:144
	v_cvt_f64_f32_e32 v[66:67], v66
	v_add_co_u32 v32, vcc_lo, v12, s7
	v_add_co_ci_u32_e32 v33, vcc_lo, s6, v13, vcc_lo
	ds_load_2addr_b64 v[10:13], v255 offset0:204 offset1:221
	v_cvt_f64_f32_e32 v[6:7], v18
	v_cvt_f32_f64_e32 v18, v[44:45]
	v_cvt_f32_f64_e32 v38, v[50:51]
	v_cvt_f32_f64_e32 v39, v[52:53]
	v_mul_f64 v[44:45], v[58:59], s[0:1]
	ds_load_2addr_b64 v[22:25], v42 offset0:118 offset1:135
	v_add_co_u32 v36, vcc_lo, v32, s3
	v_add_co_ci_u32_e32 v37, vcc_lo, s2, v33, vcc_lo
	v_mul_f64 v[48:49], v[14:15], s[0:1]
	v_mul_f64 v[52:53], v[64:65], s[0:1]
	;; [unrolled: 1-line block ×4, first 2 shown]
	scratch_load_b64 v[65:66], off, off offset:192 ; 8-byte Folded Reload
	v_mul_f64 v[6:7], v[6:7], s[0:1]
	global_store_b64 v[32:33], v[18:19], off
	v_cvt_f32_f64_e32 v32, v[40:41]
	v_cvt_f32_f64_e32 v33, v[44:45]
	;; [unrolled: 1-line block ×5, first 2 shown]
	s_waitcnt vmcnt(2)
	v_mul_f32_e32 v14, v57, v27
	s_waitcnt vmcnt(1) lgkmcnt(1)
	v_mul_f32_e32 v58, v61, v11
	v_mul_f32_e32 v59, v61, v10
	scratch_load_b64 v[61:62], off, off offset:152 ; 8-byte Folded Reload
	v_mul_f32_e32 v15, v57, v26
	v_fmac_f32_e32 v14, v56, v26
	v_fmac_f32_e32 v58, v60, v10
	s_delay_alu instid0(VALU_DEP_3) | instskip(NEXT) | instid1(VALU_DEP_3)
	v_fma_f32 v15, v56, v27, -v15
	v_cvt_f64_f32_e32 v[26:27], v14
	v_fma_f32 v14, v60, v11, -v59
	s_delay_alu instid0(VALU_DEP_4) | instskip(NEXT) | instid1(VALU_DEP_4)
	v_cvt_f64_f32_e32 v[10:11], v58
	v_cvt_f64_f32_e32 v[56:57], v15
	s_delay_alu instid0(VALU_DEP_3) | instskip(SKIP_1) | instid1(VALU_DEP_1)
	v_cvt_f64_f32_e32 v[58:59], v14
	v_mul_f64 v[6:7], v[26:27], s[0:1]
	v_cvt_f32_f64_e32 v6, v[6:7]
	s_waitcnt vmcnt(0)
	v_mul_f32_e32 v15, v62, v31
	v_mul_f32_e32 v60, v62, v30
	s_waitcnt lgkmcnt(0)
	s_delay_alu instid0(VALU_DEP_2) | instskip(NEXT) | instid1(VALU_DEP_2)
	v_dual_mul_f32 v62, v66, v23 :: v_dual_fmac_f32 v15, v61, v30
	v_fma_f32 v14, v61, v31, -v60
	s_delay_alu instid0(VALU_DEP_2)
	v_fmac_f32_e32 v62, v65, v22
	v_mul_f32_e32 v22, v66, v22
	scratch_load_b64 v[66:67], off, off offset:128 ; 8-byte Folded Reload
	v_cvt_f64_f32_e32 v[30:31], v15
	v_cvt_f64_f32_e32 v[60:61], v14
	;; [unrolled: 1-line block ×3, first 2 shown]
	v_fma_f32 v22, v65, v23, -v22
	v_add_co_u32 v14, vcc_lo, v36, s3
	v_add_co_ci_u32_e32 v15, vcc_lo, s2, v37, vcc_lo
	s_delay_alu instid0(VALU_DEP_3) | instskip(SKIP_2) | instid1(VALU_DEP_3)
	v_cvt_f64_f32_e32 v[22:23], v22
	v_mul_f64 v[30:31], v[30:31], s[0:1]
	v_mul_f64 v[51:52], v[60:61], s[0:1]
	;; [unrolled: 1-line block ×3, first 2 shown]
	s_delay_alu instid0(VALU_DEP_3) | instskip(NEXT) | instid1(VALU_DEP_3)
	v_cvt_f32_f64_e32 v30, v[30:31]
	v_cvt_f32_f64_e32 v31, v[51:52]
	s_waitcnt vmcnt(0)
	v_mul_f32_e32 v64, v67, v17
	s_delay_alu instid0(VALU_DEP_1) | instskip(SKIP_1) | instid1(VALU_DEP_2)
	v_fmac_f32_e32 v64, v66, v16
	v_mul_f32_e32 v16, v67, v16
	v_cvt_f64_f32_e32 v[64:65], v64
	s_delay_alu instid0(VALU_DEP_2)
	v_fma_f32 v16, v66, v17, -v16
	v_add_co_u32 v66, vcc_lo, v14, s3
	v_add_co_ci_u32_e32 v67, vcc_lo, s2, v15, vcc_lo
	global_store_b64 v[36:37], v[34:35], off
	global_store_b64 v[14:15], v[38:39], off
	;; [unrolled: 1-line block ×3, first 2 shown]
	v_cvt_f64_f32_e32 v[18:19], v16
	ds_load_2addr_b64 v[14:17], v43 offset0:32 offset1:49
	v_cvt_f32_f64_e32 v36, v[46:47]
	v_cvt_f32_f64_e32 v37, v[48:49]
	;; [unrolled: 1-line block ×3, first 2 shown]
	v_mul_f64 v[45:46], v[56:57], s[0:1]
	v_mul_f64 v[49:50], v[58:59], s[0:1]
	;; [unrolled: 1-line block ×3, first 2 shown]
	s_clause 0x1
	scratch_load_b64 v[57:58], off, off offset:120
	scratch_load_b64 v[61:62], off, off offset:104
	ds_load_2addr_b64 v[26:29], v255 offset0:136 offset1:153
	v_mul_f64 v[47:48], v[10:11], s[0:1]
	v_add_co_u32 v34, vcc_lo, v66, s3
	v_add_co_ci_u32_e32 v35, vcc_lo, s2, v67, vcc_lo
	s_delay_alu instid0(VALU_DEP_2) | instskip(NEXT) | instid1(VALU_DEP_2)
	v_add_co_u32 v38, vcc_lo, v34, s3
	v_add_co_ci_u32_e32 v39, vcc_lo, s2, v35, vcc_lo
	v_mul_f64 v[55:56], v[64:65], s[0:1]
	scratch_load_b64 v[64:65], off, off offset:80 ; 8-byte Folded Reload
	v_cvt_f32_f64_e32 v7, v[45:46]
	s_waitcnt vmcnt(2) lgkmcnt(1)
	v_mul_f32_e32 v10, v58, v15
	v_mul_f32_e32 v11, v58, v14
	s_waitcnt vmcnt(1)
	s_delay_alu instid0(VALU_DEP_2) | instskip(NEXT) | instid1(VALU_DEP_2)
	v_dual_mul_f32 v59, v62, v21 :: v_dual_fmac_f32 v10, v57, v14
	v_fma_f32 v11, v57, v15, -v11
	s_delay_alu instid0(VALU_DEP_2)
	v_fmac_f32_e32 v59, v61, v20
	v_mul_f32_e32 v20, v62, v20
	v_mul_f64 v[14:15], v[18:19], s[0:1]
	v_cvt_f64_f32_e32 v[18:19], v10
	v_cvt_f64_f32_e32 v[57:58], v11
	;; [unrolled: 1-line block ×3, first 2 shown]
	v_fma_f32 v10, v61, v21, -v20
	s_delay_alu instid0(VALU_DEP_1)
	v_cvt_f64_f32_e32 v[20:21], v10
	v_add_co_u32 v10, vcc_lo, v38, s3
	s_waitcnt vmcnt(0) lgkmcnt(0)
	v_mul_f32_e32 v61, v65, v27
	v_mul_f32_e32 v11, v65, v26
	scratch_load_b64 v[65:66], off, off offset:88 ; 8-byte Folded Reload
	v_fmac_f32_e32 v61, v64, v26
	v_fma_f32 v64, v64, v27, -v11
	v_add_co_ci_u32_e32 v11, vcc_lo, s2, v39, vcc_lo
	v_add_co_u32 v67, vcc_lo, v10, s7
	global_store_b64 v[34:35], v[32:33], off
	global_store_b64 v[38:39], v[36:37], off
	;; [unrolled: 1-line block ×3, first 2 shown]
	v_add_co_ci_u32_e32 v68, vcc_lo, s6, v11, vcc_lo
	v_cvt_f32_f64_e32 v35, v[22:23]
	v_cvt_f64_f32_e32 v[26:27], v61
	v_cvt_f32_f64_e32 v32, v[47:48]
	global_store_b64 v[67:68], v[43:44], off
	v_cvt_f32_f64_e32 v33, v[49:50]
	v_cvt_f32_f64_e32 v34, v[53:54]
	;; [unrolled: 1-line block ×4, first 2 shown]
	v_add_co_u32 v14, vcc_lo, v67, s3
	v_add_co_ci_u32_e32 v15, vcc_lo, s2, v68, vcc_lo
	v_mul_f64 v[38:39], v[59:60], s[0:1]
	s_clause 0x1
	scratch_load_b64 v[67:68], off, off offset:8
	scratch_load_b32 v59, off, off offset:4
	v_mul_f64 v[18:19], v[18:19], s[0:1]
	v_mul_f64 v[40:41], v[20:21], s[0:1]
	v_add_co_u32 v20, vcc_lo, v14, s3
	v_add_co_ci_u32_e32 v21, vcc_lo, s2, v15, vcc_lo
	v_mul_f64 v[36:37], v[57:58], s[0:1]
	s_delay_alu instid0(VALU_DEP_3) | instskip(NEXT) | instid1(VALU_DEP_3)
	v_add_co_u32 v53, vcc_lo, v20, s3
	v_add_co_ci_u32_e32 v54, vcc_lo, s2, v21, vcc_lo
	s_delay_alu instid0(VALU_DEP_2) | instskip(NEXT) | instid1(VALU_DEP_2)
	v_add_co_u32 v55, vcc_lo, v53, s3
	v_add_co_ci_u32_e32 v56, vcc_lo, s2, v54, vcc_lo
	v_mul_f64 v[26:27], v[26:27], s[0:1]
	s_delay_alu instid0(VALU_DEP_1) | instskip(SKIP_3) | instid1(VALU_DEP_2)
	v_cvt_f32_f64_e32 v26, v[26:27]
	s_waitcnt vmcnt(2)
	v_mul_f32_e32 v63, v66, v13
	v_mul_f32_e32 v62, v66, v12
	v_fmac_f32_e32 v63, v65, v12
	s_delay_alu instid0(VALU_DEP_2) | instskip(SKIP_1) | instid1(VALU_DEP_3)
	v_fma_f32 v12, v65, v13, -v62
	v_cvt_f64_f32_e32 v[61:62], v64
	v_cvt_f64_f32_e32 v[63:64], v63
	s_delay_alu instid0(VALU_DEP_3)
	v_cvt_f64_f32_e32 v[65:66], v12
	ds_load_2addr_b64 v[10:13], v42 offset0:50 offset1:67
	s_waitcnt vmcnt(0)
	v_mad_u64_u32 v[43:44], null, s4, v59, 0
	s_waitcnt lgkmcnt(0)
	v_mul_f32_e32 v51, v68, v11
	s_delay_alu instid0(VALU_DEP_1) | instskip(SKIP_1) | instid1(VALU_DEP_2)
	v_fmac_f32_e32 v51, v67, v10
	v_mul_f32_e32 v10, v68, v10
	v_cvt_f64_f32_e32 v[51:52], v51
	v_mul_f64 v[45:46], v[61:62], s[0:1]
	v_mul_f64 v[47:48], v[63:64], s[0:1]
	;; [unrolled: 1-line block ×3, first 2 shown]
	s_delay_alu instid0(VALU_DEP_3)
	v_mad_u64_u32 v[57:58], null, s5, v59, v[44:45]
	v_add_co_u32 v58, vcc_lo, v55, s3
	v_add_co_ci_u32_e32 v59, vcc_lo, s2, v56, vcc_lo
	global_store_b64 v[14:15], v[6:7], off
	global_store_b64 v[20:21], v[32:33], off
	;; [unrolled: 1-line block ×5, first 2 shown]
	v_cvt_f32_f64_e32 v6, v[18:19]
	ds_load_2addr_b64 v[18:21], v42 offset0:220 offset1:237
	v_cvt_f32_f64_e32 v23, v[40:41]
	v_cvt_f32_f64_e32 v27, v[45:46]
	s_clause 0x2
	scratch_load_b64 v[41:42], off, off offset:64
	scratch_load_b64 v[45:46], off, off offset:40
	scratch_load_b64 v[53:54], off, off offset:24
	v_mov_b32_e32 v44, v57
	v_cvt_f32_f64_e32 v7, v[36:37]
	v_fma_f32 v34, v67, v11, -v10
	v_cvt_f32_f64_e32 v10, v[47:48]
	v_cvt_f32_f64_e32 v22, v[38:39]
	v_lshlrev_b64 v[14:15], 3, v[43:44]
	v_mad_u64_u32 v[30:31], null, 0xfffff340, s4, v[58:59]
	scratch_load_b64 v[58:59], off, off offset:16 ; 8-byte Folded Reload
	v_cvt_f32_f64_e32 v11, v[49:50]
	v_mul_f64 v[32:33], v[51:52], s[0:1]
	v_cvt_f64_f32_e32 v[34:35], v34
	v_add_co_u32 v2, vcc_lo, v2, v14
	v_add_co_ci_u32_e32 v3, vcc_lo, v3, v15, vcc_lo
	s_mulk_i32 s5, 0xf340
	s_delay_alu instid0(SALU_CYCLE_1) | instskip(NEXT) | instid1(SALU_CYCLE_1)
	s_sub_i32 s4, s5, s4
	v_add_nc_u32_e32 v31, s4, v31
	v_cvt_f32_f64_e32 v32, v[32:33]
	v_mul_f64 v[34:35], v[34:35], s[0:1]
	s_delay_alu instid0(VALU_DEP_1)
	v_cvt_f32_f64_e32 v33, v[34:35]
	s_waitcnt vmcnt(3)
	v_mul_f32_e32 v36, v42, v25
	v_mul_f32_e32 v37, v42, v24
	scratch_load_b64 v[42:43], off, off offset:72 ; 8-byte Folded Reload
	s_waitcnt vmcnt(3)
	v_mul_f32_e32 v40, v46, v17
	s_waitcnt vmcnt(2)
	v_mul_f32_e32 v49, v54, v0
	v_fmac_f32_e32 v36, v41, v24
	v_fma_f32 v24, v41, v25, -v37
	v_fmac_f32_e32 v40, v45, v16
	v_mul_f32_e32 v16, v46, v16
	scratch_load_b64 v[46:47], off, off offset:96 ; 8-byte Folded Reload
	s_waitcnt vmcnt(2)
	v_mul_f32_e32 v52, v59, v5
	v_cvt_f64_f32_e32 v[24:25], v24
	v_cvt_f64_f32_e32 v[40:41], v40
	v_fma_f32 v16, v45, v17, -v16
	v_fma_f32 v49, v53, v1, -v49
	v_fmac_f32_e32 v52, v58, v4
	v_mul_f32_e32 v4, v59, v4
	scratch_load_b64 v[59:60], off, off offset:48 ; 8-byte Folded Reload
	v_fma_f32 v4, v58, v5, -v4
	s_delay_alu instid0(VALU_DEP_1) | instskip(SKIP_1) | instid1(VALU_DEP_2)
	v_cvt_f64_f32_e32 v[4:5], v4
	v_mul_f64 v[40:41], v[40:41], s[0:1]
	v_mul_f64 v[4:5], v[4:5], s[0:1]
	s_delay_alu instid0(VALU_DEP_2) | instskip(SKIP_3) | instid1(VALU_DEP_2)
	v_cvt_f32_f64_e32 v40, v[40:41]
	s_waitcnt vmcnt(2) lgkmcnt(0)
	v_mul_f32_e32 v38, v43, v19
	v_mul_f32_e32 v39, v43, v18
	v_fmac_f32_e32 v38, v42, v18
	s_delay_alu instid0(VALU_DEP_2)
	v_fma_f32 v39, v42, v19, -v39
	v_cvt_f64_f32_e32 v[18:19], v36
	s_waitcnt vmcnt(1)
	v_mul_f32_e32 v42, v47, v9
	v_mul_f32_e32 v43, v47, v8
	scratch_load_b64 v[47:48], off, off offset:112 ; 8-byte Folded Reload
	v_cvt_f64_f32_e32 v[36:37], v38
	v_cvt_f64_f32_e32 v[38:39], v39
	v_fmac_f32_e32 v42, v46, v8
	v_fma_f32 v43, v46, v9, -v43
	v_cvt_f64_f32_e32 v[8:9], v16
	v_mul_f64 v[14:15], v[18:19], s[0:1]
	v_mul_f64 v[18:19], v[24:25], s[0:1]
	v_add_co_u32 v24, vcc_lo, v30, s3
	v_mul_f64 v[36:37], v[36:37], s[0:1]
	v_mul_f64 v[38:39], v[38:39], s[0:1]
	v_add_co_ci_u32_e32 v25, vcc_lo, s2, v31, vcc_lo
	v_mul_f64 v[8:9], v[8:9], s[0:1]
	v_add_co_u32 v58, vcc_lo, v24, s3
	v_cvt_f32_f64_e32 v14, v[14:15]
	v_cvt_f32_f64_e32 v15, v[18:19]
	;; [unrolled: 1-line block ×5, first 2 shown]
	s_waitcnt vmcnt(0)
	v_mul_f32_e32 v44, v48, v29
	v_dual_mul_f32 v17, v48, v28 :: v_dual_mul_f32 v48, v54, v1
	scratch_load_b64 v[54:55], off, off offset:32 ; 8-byte Folded Reload
	v_fmac_f32_e32 v44, v47, v28
	v_fma_f32 v46, v47, v29, -v17
	v_cvt_f64_f32_e32 v[16:17], v42
	v_cvt_f64_f32_e32 v[28:29], v43
	v_fmac_f32_e32 v48, v53, v0
	v_cvt_f64_f32_e32 v[42:43], v44
	ds_load_b64 v[44:45], v255 offset:4624
	v_cvt_f64_f32_e32 v[46:47], v46
	v_cvt_f64_f32_e32 v[52:53], v52
	v_cvt_f64_f32_e32 v[0:1], v48
	v_mul_f64 v[16:17], v[16:17], s[0:1]
	v_mul_f64 v[28:29], v[28:29], s[0:1]
	s_delay_alu instid0(VALU_DEP_3) | instskip(NEXT) | instid1(VALU_DEP_3)
	v_mul_f64 v[0:1], v[0:1], s[0:1]
	v_cvt_f32_f64_e32 v8, v[16:17]
	s_delay_alu instid0(VALU_DEP_3) | instskip(NEXT) | instid1(VALU_DEP_3)
	v_cvt_f32_f64_e32 v9, v[28:29]
	v_cvt_f32_f64_e32 v0, v[0:1]
	s_waitcnt vmcnt(0)
	v_mul_f32_e32 v50, v55, v13
	v_mul_f32_e32 v51, v55, v12
	;; [unrolled: 1-line block ×3, first 2 shown]
	s_delay_alu instid0(VALU_DEP_3) | instskip(NEXT) | instid1(VALU_DEP_3)
	v_fmac_f32_e32 v50, v54, v12
	v_fma_f32 v51, v54, v13, -v51
	v_mul_f32_e32 v54, v60, v21
	scratch_load_b64 v[60:61], off, off offset:56 ; 8-byte Folded Reload
	v_fma_f32 v55, v59, v21, -v55
	v_cvt_f64_f32_e32 v[12:13], v49
	v_cvt_f64_f32_e32 v[48:49], v50
	v_fmac_f32_e32 v54, v59, v20
	v_cvt_f64_f32_e32 v[50:51], v51
	v_add_co_ci_u32_e32 v59, vcc_lo, s2, v25, vcc_lo
	global_store_b64 v[2:3], v[6:7], off
	global_store_b64 v[30:31], v[22:23], off
	;; [unrolled: 1-line block ×4, first 2 shown]
	v_cvt_f64_f32_e32 v[20:21], v54
	v_mul_f64 v[2:3], v[42:43], s[0:1]
	v_mul_f64 v[6:7], v[46:47], s[0:1]
	;; [unrolled: 1-line block ×3, first 2 shown]
	v_add_co_u32 v34, vcc_lo, v58, s3
	v_add_co_ci_u32_e32 v35, vcc_lo, s2, v59, vcc_lo
	s_delay_alu instid0(VALU_DEP_2) | instskip(NEXT) | instid1(VALU_DEP_2)
	v_add_co_u32 v18, vcc_lo, v34, s3
	v_add_co_ci_u32_e32 v19, vcc_lo, s2, v35, vcc_lo
	global_store_b64 v[34:35], v[32:33], off
	v_add_co_u32 v38, vcc_lo, v18, s3
	v_add_co_ci_u32_e32 v39, vcc_lo, s2, v19, vcc_lo
	global_store_b64 v[18:19], v[14:15], off
	;; [unrolled: 3-line block ×3, first 2 shown]
	global_store_b64 v[16:17], v[40:41], off
	v_mul_f64 v[10:11], v[12:13], s[0:1]
	v_mul_f64 v[12:13], v[48:49], s[0:1]
	;; [unrolled: 1-line block ×4, first 2 shown]
	v_cvt_f32_f64_e32 v2, v[2:3]
	v_cvt_f32_f64_e32 v3, v[6:7]
	v_cvt_f32_f64_e32 v1, v[10:11]
	v_cvt_f32_f64_e32 v6, v[12:13]
	v_cvt_f32_f64_e32 v10, v[24:25]
	v_cvt_f32_f64_e32 v7, v[22:23]
	v_cvt_f32_f64_e32 v11, v[4:5]
	v_cvt_f32_f64_e32 v4, v[20:21]
	v_add_co_u32 v20, vcc_lo, v16, s7
	v_add_co_ci_u32_e32 v21, vcc_lo, s6, v17, vcc_lo
	s_delay_alu instid0(VALU_DEP_2) | instskip(NEXT) | instid1(VALU_DEP_2)
	v_add_co_u32 v22, vcc_lo, v20, s3
	v_add_co_ci_u32_e32 v23, vcc_lo, s2, v21, vcc_lo
	global_store_b64 v[20:21], v[8:9], off
	v_add_co_u32 v14, vcc_lo, v22, s3
	v_add_co_ci_u32_e32 v15, vcc_lo, s2, v23, vcc_lo
	global_store_b64 v[22:23], v[2:3], off
	v_add_co_u32 v18, vcc_lo, v14, s3
	v_add_co_ci_u32_e32 v19, vcc_lo, s2, v15, vcc_lo
	s_delay_alu instid0(VALU_DEP_2) | instskip(NEXT) | instid1(VALU_DEP_2)
	v_add_co_u32 v16, vcc_lo, v18, s3
	v_add_co_ci_u32_e32 v17, vcc_lo, s2, v19, vcc_lo
	s_delay_alu instid0(VALU_DEP_2) | instskip(NEXT) | instid1(VALU_DEP_2)
	;; [unrolled: 3-line block ×3, first 2 shown]
	v_add_co_u32 v2, vcc_lo, v8, s3
	v_add_co_ci_u32_e32 v3, vcc_lo, s2, v9, vcc_lo
	s_waitcnt vmcnt(0) lgkmcnt(0)
	v_mul_f32_e32 v56, v61, v45
	v_mul_f32_e32 v57, v61, v44
	s_delay_alu instid0(VALU_DEP_2) | instskip(NEXT) | instid1(VALU_DEP_2)
	v_fmac_f32_e32 v56, v60, v44
	v_fma_f32 v57, v60, v45, -v57
	v_cvt_f64_f32_e32 v[44:45], v55
	s_delay_alu instid0(VALU_DEP_3) | instskip(NEXT) | instid1(VALU_DEP_3)
	v_cvt_f64_f32_e32 v[54:55], v56
	v_cvt_f64_f32_e32 v[56:57], v57
	s_delay_alu instid0(VALU_DEP_3) | instskip(NEXT) | instid1(VALU_DEP_3)
	v_mul_f64 v[26:27], v[44:45], s[0:1]
	v_mul_f64 v[30:31], v[54:55], s[0:1]
	s_delay_alu instid0(VALU_DEP_3) | instskip(NEXT) | instid1(VALU_DEP_3)
	v_mul_f64 v[42:43], v[56:57], s[0:1]
	v_cvt_f32_f64_e32 v5, v[26:27]
	s_delay_alu instid0(VALU_DEP_3) | instskip(NEXT) | instid1(VALU_DEP_3)
	v_cvt_f32_f64_e32 v12, v[30:31]
	v_cvt_f32_f64_e32 v13, v[42:43]
	global_store_b64 v[14:15], v[0:1], off
	global_store_b64 v[18:19], v[6:7], off
	;; [unrolled: 1-line block ×5, first 2 shown]
.LBB0_10:
	s_nop 0
	s_sendmsg sendmsg(MSG_DEALLOC_VGPRS)
	s_endpgm
	.section	.rodata,"a",@progbits
	.p2align	6, 0x0
	.amdhsa_kernel bluestein_single_fwd_len595_dim1_sp_op_CI_CI
		.amdhsa_group_segment_fixed_size 14280
		.amdhsa_private_segment_fixed_size 620
		.amdhsa_kernarg_size 104
		.amdhsa_user_sgpr_count 15
		.amdhsa_user_sgpr_dispatch_ptr 0
		.amdhsa_user_sgpr_queue_ptr 0
		.amdhsa_user_sgpr_kernarg_segment_ptr 1
		.amdhsa_user_sgpr_dispatch_id 0
		.amdhsa_user_sgpr_private_segment_size 0
		.amdhsa_wavefront_size32 1
		.amdhsa_uses_dynamic_stack 0
		.amdhsa_enable_private_segment 1
		.amdhsa_system_sgpr_workgroup_id_x 1
		.amdhsa_system_sgpr_workgroup_id_y 0
		.amdhsa_system_sgpr_workgroup_id_z 0
		.amdhsa_system_sgpr_workgroup_info 0
		.amdhsa_system_vgpr_workitem_id 0
		.amdhsa_next_free_vgpr 256
		.amdhsa_next_free_sgpr 20
		.amdhsa_reserve_vcc 1
		.amdhsa_float_round_mode_32 0
		.amdhsa_float_round_mode_16_64 0
		.amdhsa_float_denorm_mode_32 3
		.amdhsa_float_denorm_mode_16_64 3
		.amdhsa_dx10_clamp 1
		.amdhsa_ieee_mode 1
		.amdhsa_fp16_overflow 0
		.amdhsa_workgroup_processor_mode 1
		.amdhsa_memory_ordered 1
		.amdhsa_forward_progress 0
		.amdhsa_shared_vgpr_count 0
		.amdhsa_exception_fp_ieee_invalid_op 0
		.amdhsa_exception_fp_denorm_src 0
		.amdhsa_exception_fp_ieee_div_zero 0
		.amdhsa_exception_fp_ieee_overflow 0
		.amdhsa_exception_fp_ieee_underflow 0
		.amdhsa_exception_fp_ieee_inexact 0
		.amdhsa_exception_int_div_zero 0
	.end_amdhsa_kernel
	.text
.Lfunc_end0:
	.size	bluestein_single_fwd_len595_dim1_sp_op_CI_CI, .Lfunc_end0-bluestein_single_fwd_len595_dim1_sp_op_CI_CI
                                        ; -- End function
	.section	.AMDGPU.csdata,"",@progbits
; Kernel info:
; codeLenInByte = 57204
; NumSgprs: 22
; NumVgprs: 256
; ScratchSize: 620
; MemoryBound: 0
; FloatMode: 240
; IeeeMode: 1
; LDSByteSize: 14280 bytes/workgroup (compile time only)
; SGPRBlocks: 2
; VGPRBlocks: 31
; NumSGPRsForWavesPerEU: 22
; NumVGPRsForWavesPerEU: 256
; Occupancy: 5
; WaveLimiterHint : 1
; COMPUTE_PGM_RSRC2:SCRATCH_EN: 1
; COMPUTE_PGM_RSRC2:USER_SGPR: 15
; COMPUTE_PGM_RSRC2:TRAP_HANDLER: 0
; COMPUTE_PGM_RSRC2:TGID_X_EN: 1
; COMPUTE_PGM_RSRC2:TGID_Y_EN: 0
; COMPUTE_PGM_RSRC2:TGID_Z_EN: 0
; COMPUTE_PGM_RSRC2:TIDIG_COMP_CNT: 0
	.text
	.p2alignl 7, 3214868480
	.fill 96, 4, 3214868480
	.type	__hip_cuid_e6814773de121eb,@object ; @__hip_cuid_e6814773de121eb
	.section	.bss,"aw",@nobits
	.globl	__hip_cuid_e6814773de121eb
__hip_cuid_e6814773de121eb:
	.byte	0                               ; 0x0
	.size	__hip_cuid_e6814773de121eb, 1

	.ident	"AMD clang version 19.0.0git (https://github.com/RadeonOpenCompute/llvm-project roc-6.4.0 25133 c7fe45cf4b819c5991fe208aaa96edf142730f1d)"
	.section	".note.GNU-stack","",@progbits
	.addrsig
	.addrsig_sym __hip_cuid_e6814773de121eb
	.amdgpu_metadata
---
amdhsa.kernels:
  - .args:
      - .actual_access:  read_only
        .address_space:  global
        .offset:         0
        .size:           8
        .value_kind:     global_buffer
      - .actual_access:  read_only
        .address_space:  global
        .offset:         8
        .size:           8
        .value_kind:     global_buffer
      - .actual_access:  read_only
        .address_space:  global
        .offset:         16
        .size:           8
        .value_kind:     global_buffer
      - .actual_access:  read_only
        .address_space:  global
        .offset:         24
        .size:           8
        .value_kind:     global_buffer
      - .actual_access:  read_only
        .address_space:  global
        .offset:         32
        .size:           8
        .value_kind:     global_buffer
      - .offset:         40
        .size:           8
        .value_kind:     by_value
      - .address_space:  global
        .offset:         48
        .size:           8
        .value_kind:     global_buffer
      - .address_space:  global
        .offset:         56
        .size:           8
        .value_kind:     global_buffer
      - .address_space:  global
        .offset:         64
        .size:           8
        .value_kind:     global_buffer
      - .address_space:  global
        .offset:         72
        .size:           8
        .value_kind:     global_buffer
      - .offset:         80
        .size:           4
        .value_kind:     by_value
      - .address_space:  global
        .offset:         88
        .size:           8
        .value_kind:     global_buffer
      - .address_space:  global
        .offset:         96
        .size:           8
        .value_kind:     global_buffer
    .group_segment_fixed_size: 14280
    .kernarg_segment_align: 8
    .kernarg_segment_size: 104
    .language:       OpenCL C
    .language_version:
      - 2
      - 0
    .max_flat_workgroup_size: 51
    .name:           bluestein_single_fwd_len595_dim1_sp_op_CI_CI
    .private_segment_fixed_size: 620
    .sgpr_count:     22
    .sgpr_spill_count: 0
    .symbol:         bluestein_single_fwd_len595_dim1_sp_op_CI_CI.kd
    .uniform_work_group_size: 1
    .uses_dynamic_stack: false
    .vgpr_count:     256
    .vgpr_spill_count: 156
    .wavefront_size: 32
    .workgroup_processor_mode: 1
amdhsa.target:   amdgcn-amd-amdhsa--gfx1100
amdhsa.version:
  - 1
  - 2
...

	.end_amdgpu_metadata
